;; amdgpu-corpus repo=ROCm/rocFFT kind=compiled arch=gfx1100 opt=O3
	.text
	.amdgcn_target "amdgcn-amd-amdhsa--gfx1100"
	.amdhsa_code_object_version 6
	.protected	bluestein_single_fwd_len1911_dim1_dp_op_CI_CI ; -- Begin function bluestein_single_fwd_len1911_dim1_dp_op_CI_CI
	.globl	bluestein_single_fwd_len1911_dim1_dp_op_CI_CI
	.p2align	8
	.type	bluestein_single_fwd_len1911_dim1_dp_op_CI_CI,@function
bluestein_single_fwd_len1911_dim1_dp_op_CI_CI: ; @bluestein_single_fwd_len1911_dim1_dp_op_CI_CI
; %bb.0:
	s_load_b128 s[16:19], s[0:1], 0x28
	v_mul_u32_u24_e32 v1, 0x2d1, v0
	s_mov_b32 s2, exec_lo
	v_mov_b32_e32 v8, 0
	s_delay_alu instid0(VALU_DEP_2) | instskip(NEXT) | instid1(VALU_DEP_1)
	v_lshrrev_b32_e32 v1, 16, v1
	v_add_nc_u32_e32 v7, s15, v1
	s_waitcnt lgkmcnt(0)
	s_delay_alu instid0(VALU_DEP_1)
	v_cmpx_gt_u64_e64 s[16:17], v[7:8]
	s_cbranch_execz .LBB0_15
; %bb.1:
	s_clause 0x1
	s_load_b128 s[4:7], s[0:1], 0x18
	s_load_b64 s[2:3], s[0:1], 0x0
	v_mul_lo_u16 v1, 0x5b, v1
	v_mov_b32_e32 v5, v7
	s_delay_alu instid0(VALU_DEP_2) | instskip(NEXT) | instid1(VALU_DEP_1)
	v_sub_nc_u16 v2, v0, v1
	v_and_b32_e32 v8, 0xffff, v2
	s_delay_alu instid0(VALU_DEP_1)
	v_lshlrev_b32_e32 v138, 4, v8
	s_waitcnt lgkmcnt(0)
	s_load_b128 s[8:11], s[4:5], 0x0
	s_clause 0x1
	global_load_b128 v[110:113], v138, s[2:3]
	global_load_b128 v[114:117], v138, s[2:3] offset:2352
	v_add_co_u32 v104, s4, s2, v138
	s_delay_alu instid0(VALU_DEP_1) | instskip(NEXT) | instid1(VALU_DEP_2)
	v_add_co_ci_u32_e64 v105, null, s3, 0, s4
	v_add_co_u32 v15, vcc_lo, 0x1000, v104
	s_delay_alu instid0(VALU_DEP_2)
	v_add_co_ci_u32_e32 v16, vcc_lo, 0, v105, vcc_lo
	s_clause 0x1
	scratch_store_b32 off, v8, off
	scratch_store_b64 off, v[5:6], off offset:132
	v_add_co_u32 v13, vcc_lo, 0x2000, v104
	scratch_store_b64 off, v[15:16], off offset:124 ; 8-byte Folded Spill
	v_add_co_ci_u32_e32 v14, vcc_lo, 0, v105, vcc_lo
	v_add_co_u32 v11, vcc_lo, 0x3000, v104
	s_waitcnt lgkmcnt(0)
	v_mad_u64_u32 v[0:1], null, s10, v7, 0
	v_mad_u64_u32 v[3:4], null, s8, v8, 0
	v_add_co_ci_u32_e32 v12, vcc_lo, 0, v105, vcc_lo
	v_add_co_u32 v9, vcc_lo, 0x4000, v104
	s_delay_alu instid0(VALU_DEP_4) | instskip(SKIP_3) | instid1(VALU_DEP_4)
	v_mad_u64_u32 v[5:6], null, s11, v7, v[1:2]
	v_add_co_ci_u32_e32 v10, vcc_lo, 0, v105, vcc_lo
	v_add_co_u32 v49, vcc_lo, 0x5000, v104
	v_add_co_ci_u32_e32 v50, vcc_lo, 0, v105, vcc_lo
	v_mad_u64_u32 v[6:7], null, s9, v8, v[4:5]
	v_mov_b32_e32 v1, v5
	v_add_co_u32 v51, vcc_lo, 0x6000, v104
	v_add_co_ci_u32_e32 v52, vcc_lo, 0, v105, vcc_lo
	s_delay_alu instid0(VALU_DEP_3)
	v_lshlrev_b64 v[0:1], 4, v[0:1]
	v_mov_b32_e32 v4, v6
	s_mul_i32 s3, s9, 0x93
	s_mul_hi_u32 s4, s8, 0x93
	s_mul_i32 s2, s8, 0x93
	s_add_i32 s3, s4, s3
	v_lshlrev_b64 v[3:4], 4, v[3:4]
	v_add_co_u32 v0, vcc_lo, s18, v0
	v_add_co_ci_u32_e32 v1, vcc_lo, s19, v1, vcc_lo
	s_lshl_b64 s[12:13], s[2:3], 4
	s_delay_alu instid0(VALU_DEP_2) | instskip(NEXT) | instid1(VALU_DEP_2)
	v_add_co_u32 v0, vcc_lo, v0, v3
	v_add_co_ci_u32_e32 v1, vcc_lo, v1, v4, vcc_lo
	global_load_b128 v[147:150], v[15:16], off offset:608
	v_add_co_u32 v7, vcc_lo, v0, s12
	v_add_co_ci_u32_e32 v8, vcc_lo, s13, v1, vcc_lo
	s_clause 0x1
	global_load_b128 v[143:146], v[15:16], off offset:2960
	global_load_b128 v[134:137], v[13:14], off offset:1216
	s_clause 0x1
	scratch_store_b64 off, v[13:14], off offset:116
	scratch_store_b64 off, v[11:12], off offset:108
	s_clause 0x2
	global_load_b128 v[126:129], v[13:14], off offset:3568
	global_load_b128 v[139:142], v[11:12], off offset:1824
	;; [unrolled: 1-line block ×3, first 2 shown]
	v_add_co_u32 v11, vcc_lo, v7, s12
	v_add_co_ci_u32_e32 v12, vcc_lo, s13, v8, vcc_lo
	scratch_store_b64 off, v[9:10], off offset:84 ; 8-byte Folded Spill
	v_add_co_u32 v15, vcc_lo, v11, s12
	v_add_co_ci_u32_e32 v16, vcc_lo, s13, v12, vcc_lo
	s_clause 0x1
	global_load_b128 v[122:125], v[9:10], off offset:2432
	global_load_b128 v[118:121], v[49:50], off offset:688
	s_clause 0x1
	global_load_b128 v[3:6], v[0:1], off
	global_load_b128 v[7:10], v[7:8], off
	v_add_co_u32 v0, vcc_lo, v15, s12
	v_add_co_ci_u32_e32 v1, vcc_lo, s13, v16, vcc_lo
	s_clause 0x1
	global_load_b128 v[11:14], v[11:12], off
	global_load_b128 v[15:18], v[15:16], off
	v_add_co_u32 v23, vcc_lo, v0, s12
	v_add_co_ci_u32_e32 v24, vcc_lo, s13, v1, vcc_lo
	global_load_b128 v[19:22], v[0:1], off
	v_add_co_u32 v0, vcc_lo, v23, s12
	v_add_co_ci_u32_e32 v1, vcc_lo, s13, v24, vcc_lo
	scratch_store_b64 off, v[49:50], off offset:100 ; 8-byte Folded Spill
	v_add_co_u32 v31, vcc_lo, v0, s12
	v_add_co_ci_u32_e32 v32, vcc_lo, s13, v1, vcc_lo
	global_load_b128 v[27:30], v[0:1], off
	v_add_co_u32 v0, vcc_lo, v31, s12
	v_add_co_ci_u32_e32 v1, vcc_lo, s13, v32, vcc_lo
	global_load_b128 v[23:26], v[23:24], off
	;; [unrolled: 3-line block ×6, first 2 shown]
	s_clause 0x1
	global_load_b128 v[159:162], v[49:50], off offset:3040
	global_load_b128 v[151:154], v[51:52], off offset:1296
	global_load_b128 v[47:50], v[47:48], off
	scratch_store_b64 off, v[51:52], off offset:92 ; 8-byte Folded Spill
	global_load_b128 v[155:158], v[51:52], off offset:3648
	global_load_b128 v[51:54], v[0:1], off
	v_cmp_gt_u16_e32 vcc_lo, 56, v2
	s_waitcnt vmcnt(25)
	scratch_store_b128 off, v[110:113], off offset:140 ; 16-byte Folded Spill
	s_waitcnt vmcnt(24)
	scratch_store_b128 off, v[114:117], off offset:156 ; 16-byte Folded Spill
	;; [unrolled: 2-line block ×5, first 2 shown]
	s_waitcnt vmcnt(19)
	s_clause 0x1
	scratch_store_b128 off, v[139:142], off offset:252
	scratch_store_b128 off, v[126:129], off offset:204
	s_waitcnt vmcnt(18)
	scratch_store_b128 off, v[130:133], off offset:220 ; 16-byte Folded Spill
	s_waitcnt vmcnt(17)
	scratch_store_b128 off, v[122:125], off offset:188 ; 16-byte Folded Spill
	;; [unrolled: 2-line block ×3, first 2 shown]
	s_waitcnt vmcnt(15)
	v_mul_f64 v[55:56], v[5:6], v[112:113]
	v_mul_f64 v[57:58], v[3:4], v[112:113]
	s_waitcnt vmcnt(14)
	v_mul_f64 v[59:60], v[9:10], v[116:117]
	v_mul_f64 v[61:62], v[7:8], v[116:117]
	;; [unrolled: 3-line block ×9, first 2 shown]
	v_fma_f64 v[3:4], v[3:4], v[110:111], v[55:56]
	v_fma_f64 v[5:6], v[5:6], v[110:111], -v[57:58]
	v_fma_f64 v[7:8], v[7:8], v[114:115], v[59:60]
	v_fma_f64 v[9:10], v[9:10], v[114:115], -v[61:62]
	;; [unrolled: 2-line block ×3, first 2 shown]
	s_waitcnt vmcnt(4)
	v_mul_f64 v[95:96], v[45:46], v[161:162]
	v_mul_f64 v[97:98], v[43:44], v[161:162]
	s_waitcnt vmcnt(2)
	v_mul_f64 v[99:100], v[49:50], v[153:154]
	v_mul_f64 v[101:102], v[47:48], v[153:154]
	;; [unrolled: 3-line block ×3, first 2 shown]
	v_mul_f64 v[83:84], v[33:34], v[132:133]
	v_mul_f64 v[85:86], v[31:32], v[132:133]
	v_fma_f64 v[15:16], v[15:16], v[143:144], v[67:68]
	v_fma_f64 v[17:18], v[17:18], v[143:144], -v[69:70]
	v_fma_f64 v[19:20], v[19:20], v[134:135], v[71:72]
	v_fma_f64 v[21:22], v[21:22], v[134:135], -v[73:74]
	s_clause 0x2
	scratch_store_b128 off, v[159:162], off offset:332
	scratch_store_b128 off, v[151:154], off offset:300
	;; [unrolled: 1-line block ×3, first 2 shown]
	v_fma_f64 v[27:28], v[27:28], v[139:140], v[79:80]
	v_fma_f64 v[29:30], v[29:30], v[139:140], -v[81:82]
	s_load_b64 s[10:11], s[0:1], 0x38
	s_load_b128 s[4:7], s[6:7], 0x0
	v_fma_f64 v[23:24], v[23:24], v[126:127], v[75:76]
	v_fma_f64 v[25:26], v[25:26], v[126:127], -v[77:78]
	v_fma_f64 v[35:36], v[35:36], v[122:123], v[87:88]
	v_fma_f64 v[37:38], v[37:38], v[122:123], -v[89:90]
	;; [unrolled: 2-line block ×7, first 2 shown]
	ds_store_b128 v138, v[3:6]
	ds_store_b128 v138, v[7:10] offset:2352
	ds_store_b128 v138, v[11:14] offset:4704
	;; [unrolled: 1-line block ×12, first 2 shown]
	s_and_saveexec_b32 s3, vcc_lo
	s_cbranch_execz .LBB0_3
; %bb.2:
	v_mad_u64_u32 v[20:21], null, 0xffff9770, s8, v[0:1]
	s_clause 0x1
	global_load_b128 v[0:3], v[104:105], off offset:1456
	global_load_b128 v[4:7], v[104:105], off offset:3808
	s_clause 0x1
	scratch_load_b64 v[8:9], off, off offset:124
	scratch_load_b64 v[16:17], off, off offset:116
	s_mul_i32 s2, s9, 0xffff9770
	s_delay_alu instid0(SALU_CYCLE_1) | instskip(NEXT) | instid1(SALU_CYCLE_1)
	s_sub_i32 s2, s2, s8
	v_add_nc_u32_e32 v21, s2, v21
	v_add_co_u32 v24, s2, v20, s12
	s_delay_alu instid0(VALU_DEP_1) | instskip(NEXT) | instid1(VALU_DEP_2)
	v_add_co_ci_u32_e64 v25, s2, s13, v21, s2
	v_add_co_u32 v28, s2, v24, s12
	s_delay_alu instid0(VALU_DEP_1) | instskip(NEXT) | instid1(VALU_DEP_2)
	v_add_co_ci_u32_e64 v29, s2, s13, v25, s2
	;; [unrolled: 3-line block ×10, first 2 shown]
	v_add_co_u32 v88, s2, v84, s12
	s_delay_alu instid0(VALU_DEP_1) | instskip(SKIP_1) | instid1(VALU_DEP_1)
	v_add_co_ci_u32_e64 v89, s2, s13, v85, s2
	v_add_co_u32 v96, s2, 0x7000, v104
	v_add_co_ci_u32_e64 v97, s2, 0, v105, s2
	s_delay_alu instid0(VALU_DEP_4) | instskip(NEXT) | instid1(VALU_DEP_1)
	v_add_co_u32 v100, s2, v88, s12
	v_add_co_ci_u32_e64 v101, s2, s13, v89, s2
	s_waitcnt vmcnt(1)
	global_load_b128 v[8:11], v[8:9], off offset:2064
	s_waitcnt vmcnt(1)
	s_clause 0x1
	global_load_b128 v[12:15], v[16:17], off offset:320
	global_load_b128 v[16:19], v[16:17], off offset:2672
	global_load_b128 v[20:23], v[20:21], off
	global_load_b128 v[24:27], v[24:25], off
	;; [unrolled: 1-line block ×7, first 2 shown]
	scratch_load_b64 v[52:53], off, off offset:108 ; 8-byte Folded Reload
	s_waitcnt vmcnt(0)
	s_clause 0x1
	global_load_b128 v[48:51], v[52:53], off offset:928
	global_load_b128 v[52:55], v[52:53], off offset:3280
	scratch_load_b64 v[68:69], off, off offset:84 ; 8-byte Folded Reload
	global_load_b128 v[56:59], v[56:57], off
	global_load_b128 v[60:63], v[60:61], off
	v_mul_f64 v[106:107], v[22:23], v[2:3]
	v_mul_f64 v[2:3], v[20:21], v[2:3]
	;; [unrolled: 1-line block ×10, first 2 shown]
	s_waitcnt vmcnt(2)
	s_clause 0x1
	global_load_b128 v[64:67], v[68:69], off offset:1536
	global_load_b128 v[68:71], v[68:69], off offset:3888
	global_load_b128 v[72:75], v[72:73], off
	scratch_load_b64 v[76:77], off, off offset:100 ; 8-byte Folded Reload
	v_mul_f64 v[118:119], v[42:43], v[50:51]
	v_mul_f64 v[50:51], v[40:41], v[50:51]
	;; [unrolled: 1-line block ×4, first 2 shown]
	v_fma_f64 v[18:19], v[20:21], v[0:1], v[106:107]
	v_fma_f64 v[20:21], v[22:23], v[0:1], -v[2:3]
	v_fma_f64 v[0:1], v[24:25], v[4:5], v[108:109]
	v_fma_f64 v[2:3], v[26:27], v[4:5], -v[6:7]
	v_fma_f64 v[4:5], v[28:29], v[8:9], v[110:111]
	v_fma_f64 v[6:7], v[30:31], v[8:9], -v[10:11]
	v_fma_f64 v[8:9], v[32:33], v[12:13], v[112:113]
	v_fma_f64 v[10:11], v[34:35], v[12:13], -v[14:15]
	v_fma_f64 v[12:13], v[36:37], v[16:17], v[114:115]
	v_fma_f64 v[14:15], v[38:39], v[16:17], -v[116:117]
	s_waitcnt vmcnt(0)
	global_load_b128 v[76:79], v[76:77], off offset:2144
	global_load_b128 v[80:83], v[84:85], off
	scratch_load_b64 v[92:93], off, off offset:92 ; 8-byte Folded Reload
	v_mul_f64 v[122:123], v[58:59], v[66:67]
	v_mul_f64 v[66:67], v[56:57], v[66:67]
	;; [unrolled: 1-line block ×4, first 2 shown]
	v_fma_f64 v[22:23], v[40:41], v[48:49], v[118:119]
	v_fma_f64 v[24:25], v[42:43], v[48:49], -v[50:51]
	v_fma_f64 v[26:27], v[44:45], v[52:53], v[120:121]
	v_fma_f64 v[28:29], v[46:47], v[52:53], -v[54:55]
	s_waitcnt vmcnt(0)
	global_load_b128 v[84:87], v[92:93], off offset:400
	global_load_b128 v[88:91], v[88:89], off
	s_clause 0x1
	global_load_b128 v[92:95], v[92:93], off offset:2752
	global_load_b128 v[96:99], v[96:97], off offset:1008
	global_load_b128 v[100:103], v[100:101], off
	v_mul_f64 v[126:127], v[74:75], v[78:79]
	v_mul_f64 v[78:79], v[72:73], v[78:79]
	v_fma_f64 v[30:31], v[56:57], v[64:65], v[122:123]
	v_fma_f64 v[32:33], v[58:59], v[64:65], -v[66:67]
	v_fma_f64 v[34:35], v[60:61], v[68:69], v[124:125]
	v_fma_f64 v[36:37], v[62:63], v[68:69], -v[70:71]
	v_fma_f64 v[38:39], v[72:73], v[76:77], v[126:127]
	v_fma_f64 v[40:41], v[74:75], v[76:77], -v[78:79]
	s_waitcnt vmcnt(4)
	v_mul_f64 v[128:129], v[82:83], v[86:87]
	v_mul_f64 v[86:87], v[80:81], v[86:87]
	s_waitcnt vmcnt(2)
	v_mul_f64 v[130:131], v[90:91], v[94:95]
	v_mul_f64 v[94:95], v[88:89], v[94:95]
	;; [unrolled: 3-line block ×3, first 2 shown]
	v_fma_f64 v[42:43], v[80:81], v[84:85], v[128:129]
	v_fma_f64 v[44:45], v[82:83], v[84:85], -v[86:87]
	v_fma_f64 v[46:47], v[88:89], v[92:93], v[130:131]
	v_fma_f64 v[48:49], v[90:91], v[92:93], -v[94:95]
	;; [unrolled: 2-line block ×3, first 2 shown]
	ds_store_b128 v138, v[18:21] offset:1456
	ds_store_b128 v138, v[0:3] offset:3808
	ds_store_b128 v138, v[4:7] offset:6160
	ds_store_b128 v138, v[8:11] offset:8512
	ds_store_b128 v138, v[12:15] offset:10864
	ds_store_b128 v138, v[22:25] offset:13216
	ds_store_b128 v138, v[26:29] offset:15568
	ds_store_b128 v138, v[30:33] offset:17920
	ds_store_b128 v138, v[34:37] offset:20272
	ds_store_b128 v138, v[38:41] offset:22624
	ds_store_b128 v138, v[42:45] offset:24976
	ds_store_b128 v138, v[46:49] offset:27328
	ds_store_b128 v138, v[50:53] offset:29680
.LBB0_3:
	s_or_b32 exec_lo, exec_lo, s3
	s_waitcnt lgkmcnt(0)
	s_waitcnt_vscnt null, 0x0
	s_barrier
	buffer_gl0_inv
	ds_load_b128 v[52:55], v138
	ds_load_b128 v[60:63], v138 offset:2352
	ds_load_b128 v[24:27], v138 offset:4704
	;; [unrolled: 1-line block ×12, first 2 shown]
	s_load_b64 s[2:3], s[0:1], 0x8
                                        ; implicit-def: $vgpr16_vgpr17
                                        ; implicit-def: $vgpr72_vgpr73
                                        ; implicit-def: $vgpr80_vgpr81
                                        ; implicit-def: $vgpr84_vgpr85
                                        ; implicit-def: $vgpr96_vgpr97
                                        ; implicit-def: $vgpr92_vgpr93
                                        ; implicit-def: $vgpr88_vgpr89
                                        ; implicit-def: $vgpr76_vgpr77
                                        ; implicit-def: $vgpr20_vgpr21
                                        ; implicit-def: $vgpr12_vgpr13
                                        ; implicit-def: $vgpr8_vgpr9
                                        ; implicit-def: $vgpr4_vgpr5
                                        ; implicit-def: $vgpr0_vgpr1
	s_and_saveexec_b32 s0, vcc_lo
	s_cbranch_execz .LBB0_5
; %bb.4:
	ds_load_b128 v[16:19], v138 offset:1456
	ds_load_b128 v[72:75], v138 offset:3808
	ds_load_b128 v[80:83], v138 offset:6160
	ds_load_b128 v[84:87], v138 offset:8512
	ds_load_b128 v[96:99], v138 offset:10864
	ds_load_b128 v[92:95], v138 offset:13216
	ds_load_b128 v[88:91], v138 offset:15568
	ds_load_b128 v[76:79], v138 offset:17920
	ds_load_b128 v[20:23], v138 offset:20272
	ds_load_b128 v[12:15], v138 offset:22624
	ds_load_b128 v[8:11], v138 offset:24976
	ds_load_b128 v[4:7], v138 offset:27328
	ds_load_b128 v[0:3], v138 offset:29680
.LBB0_5:
	s_or_b32 exec_lo, exec_lo, s0
	s_waitcnt lgkmcnt(0)
	v_add_f64 v[106:107], v[52:53], v[60:61]
	v_add_f64 v[108:109], v[54:55], v[62:63]
	v_add_f64 v[118:119], v[40:41], -v[36:37]
	v_add_f64 v[120:121], v[42:43], -v[38:39]
	v_add_f64 v[122:123], v[32:33], v[28:29]
	v_add_f64 v[126:127], v[32:33], -v[28:29]
	v_add_f64 v[124:125], v[34:35], v[30:31]
	;; [unrolled: 2-line block ×3, first 2 shown]
	v_add_f64 v[134:135], v[24:25], -v[64:65]
	s_mov_b32 s28, 0x4267c47c
	s_mov_b32 s26, 0x42a4c3d2
	;; [unrolled: 1-line block ×12, first 2 shown]
	v_add_f64 v[132:133], v[26:27], v[66:67]
	v_add_f64 v[136:137], v[26:27], -v[66:67]
	s_mov_b32 s18, 0xe00740e9
	s_mov_b32 s16, 0x1ea71119
	;; [unrolled: 1-line block ×14, first 2 shown]
	v_add_f64 v[106:107], v[106:107], v[24:25]
	v_add_f64 v[108:109], v[108:109], v[26:27]
	s_mov_b32 s35, 0x3fefc445
	s_mov_b32 s34, s24
	s_mov_b32 s37, 0x3fddbe06
	s_mov_b32 s36, s28
	s_mov_b32 s39, 0x3fedeba7
	s_mov_b32 s38, s20
	s_mov_b32 s45, 0x3fcea1e5
	s_mov_b32 s44, s30
	s_mov_b32 s41, 0x3fea55e2
	s_mov_b32 s40, s26
	v_add_f64 v[226:227], v[74:75], -v[2:3]
	v_add_f64 v[222:223], v[72:73], v[0:1]
	v_add_f64 v[220:221], v[82:83], -v[6:7]
	v_add_f64 v[232:233], v[72:73], -v[0:1]
	;; [unrolled: 1-line block ×3, first 2 shown]
	v_add_f64 v[228:229], v[74:75], v[2:3]
	v_add_f64 v[210:211], v[98:99], -v[14:15]
	v_add_f64 v[172:173], v[90:91], -v[78:79]
	v_add_f64 v[106:107], v[106:107], v[32:33]
	v_add_f64 v[108:109], v[108:109], v[34:35]
	v_add_f64 v[34:35], v[60:61], -v[56:57]
	v_add_f64 v[32:33], v[62:63], v[58:59]
	v_mul_f64 v[224:225], v[226:227], s[28:29]
	v_mul_f64 v[234:235], v[226:227], s[26:27]
	;; [unrolled: 1-line block ×10, first 2 shown]
	v_add_f64 v[106:107], v[106:107], v[40:41]
	v_add_f64 v[108:109], v[108:109], v[42:43]
	v_mul_f64 v[139:140], v[34:35], s[22:23]
	s_delay_alu instid0(VALU_DEP_3) | instskip(NEXT) | instid1(VALU_DEP_3)
	v_add_f64 v[106:107], v[106:107], v[48:49]
	v_add_f64 v[108:109], v[108:109], v[50:51]
	s_delay_alu instid0(VALU_DEP_3) | instskip(SKIP_1) | instid1(VALU_DEP_4)
	v_fma_f64 v[149:150], v[32:33], s[8:9], v[139:140]
	v_fma_f64 v[139:140], v[32:33], s[8:9], -v[139:140]
	v_add_f64 v[110:111], v[106:107], v[100:101]
	s_delay_alu instid0(VALU_DEP_4)
	v_add_f64 v[112:113], v[108:109], v[102:103]
	v_add_f64 v[108:109], v[102:103], v[70:71]
	v_add_f64 v[102:103], v[102:103], -v[70:71]
	v_add_f64 v[106:107], v[100:101], v[68:69]
	v_add_f64 v[100:101], v[100:101], -v[68:69]
	v_add_f64 v[149:150], v[54:55], v[149:150]
	v_add_f64 v[157:158], v[54:55], v[139:140]
	;; [unrolled: 1-line block ×5, first 2 shown]
	v_add_f64 v[110:111], v[48:49], -v[44:45]
	v_add_f64 v[68:69], v[50:51], v[46:47]
	v_add_f64 v[112:113], v[50:51], -v[46:47]
	v_add_f64 v[44:45], v[114:115], v[44:45]
	v_add_f64 v[46:47], v[116:117], v[46:47]
	;; [unrolled: 1-line block ×4, first 2 shown]
	s_delay_alu instid0(VALU_DEP_4) | instskip(NEXT) | instid1(VALU_DEP_4)
	v_add_f64 v[36:37], v[44:45], v[36:37]
	v_add_f64 v[38:39], v[46:47], v[38:39]
	s_delay_alu instid0(VALU_DEP_2) | instskip(NEXT) | instid1(VALU_DEP_2)
	v_add_f64 v[28:29], v[36:37], v[28:29]
	v_add_f64 v[30:31], v[38:39], v[30:31]
	s_delay_alu instid0(VALU_DEP_2) | instskip(SKIP_1) | instid1(VALU_DEP_3)
	v_add_f64 v[24:25], v[28:29], v[64:65]
	v_add_f64 v[28:29], v[62:63], -v[58:59]
	v_add_f64 v[26:27], v[30:31], v[66:67]
	v_add_f64 v[30:31], v[60:61], v[56:57]
	v_mul_f64 v[62:63], v[34:35], s[26:27]
	v_mul_f64 v[64:65], v[34:35], s[24:25]
	;; [unrolled: 1-line block ×3, first 2 shown]
	v_add_f64 v[24:25], v[24:25], v[56:57]
	v_mul_f64 v[36:37], v[28:29], s[28:29]
	v_mul_f64 v[38:39], v[28:29], s[26:27]
	;; [unrolled: 1-line block ×6, first 2 shown]
	v_add_f64 v[26:27], v[26:27], v[58:59]
	v_fma_f64 v[143:144], v[32:33], s[16:17], v[62:63]
	v_fma_f64 v[145:146], v[32:33], s[14:15], v[64:65]
	v_fma_f64 v[62:63], v[32:33], s[16:17], -v[62:63]
	v_fma_f64 v[64:65], v[32:33], s[14:15], -v[64:65]
	v_fma_f64 v[147:148], v[32:33], s[12:13], v[66:67]
	v_fma_f64 v[66:67], v[32:33], s[12:13], -v[66:67]
	v_fma_f64 v[46:47], v[30:31], s[18:19], -v[36:37]
	v_fma_f64 v[36:37], v[30:31], s[18:19], v[36:37]
	v_fma_f64 v[48:49], v[30:31], s[16:17], -v[38:39]
	v_fma_f64 v[38:39], v[30:31], s[16:17], v[38:39]
	;; [unrolled: 2-line block ×6, first 2 shown]
	v_mul_f64 v[30:31], v[34:35], s[28:29]
	v_mul_f64 v[34:35], v[34:35], s[30:31]
	v_add_f64 v[62:63], v[54:55], v[62:63]
	v_add_f64 v[64:65], v[54:55], v[64:65]
	;; [unrolled: 1-line block ×13, first 2 shown]
	v_mul_f64 v[42:43], v[128:129], s[24:25]
	v_fma_f64 v[141:142], v[32:33], s[18:19], v[30:31]
	v_fma_f64 v[30:31], v[32:33], s[18:19], -v[30:31]
	v_fma_f64 v[151:152], v[32:33], s[0:1], v[34:35]
	v_fma_f64 v[32:33], v[32:33], s[0:1], -v[34:35]
	v_add_f64 v[34:35], v[52:53], v[46:47]
	v_fma_f64 v[44:45], v[122:123], s[14:15], -v[42:43]
	v_add_f64 v[46:47], v[54:55], v[141:142]
	v_add_f64 v[141:142], v[54:55], v[143:144]
	;; [unrolled: 1-line block ×5, first 2 shown]
	v_mul_f64 v[28:29], v[136:137], s[26:27]
	v_add_f64 v[30:31], v[54:55], v[30:31]
	v_add_f64 v[159:160], v[54:55], v[151:152]
	;; [unrolled: 1-line block ×3, first 2 shown]
	v_mul_f64 v[40:41], v[134:135], s[26:27]
	v_fma_f64 v[32:33], v[130:131], s[16:17], -v[28:29]
	v_fma_f64 v[28:29], v[130:131], s[16:17], v[28:29]
	s_delay_alu instid0(VALU_DEP_2) | instskip(NEXT) | instid1(VALU_DEP_4)
	v_add_f64 v[32:33], v[32:33], v[34:35]
	v_fma_f64 v[34:35], v[132:133], s[16:17], v[40:41]
	s_delay_alu instid0(VALU_DEP_3) | instskip(SKIP_1) | instid1(VALU_DEP_4)
	v_add_f64 v[28:29], v[28:29], v[36:37]
	v_fma_f64 v[36:37], v[132:133], s[16:17], -v[40:41]
	v_add_f64 v[32:33], v[44:45], v[32:33]
	v_mul_f64 v[44:45], v[126:127], s[24:25]
	v_add_f64 v[34:35], v[34:35], v[46:47]
	s_delay_alu instid0(VALU_DEP_4) | instskip(SKIP_1) | instid1(VALU_DEP_4)
	v_add_f64 v[30:31], v[36:37], v[30:31]
	v_fma_f64 v[36:37], v[122:123], s[14:15], v[42:43]
	v_fma_f64 v[46:47], v[124:125], s[14:15], v[44:45]
	s_delay_alu instid0(VALU_DEP_2) | instskip(SKIP_2) | instid1(VALU_DEP_4)
	v_add_f64 v[28:29], v[36:37], v[28:29]
	v_fma_f64 v[36:37], v[124:125], s[14:15], -v[44:45]
	v_mul_f64 v[44:45], v[134:135], s[20:21]
	v_add_f64 v[34:35], v[46:47], v[34:35]
	v_mul_f64 v[46:47], v[120:121], s[20:21]
	s_delay_alu instid0(VALU_DEP_4) | instskip(NEXT) | instid1(VALU_DEP_4)
	v_add_f64 v[30:31], v[36:37], v[30:31]
	v_fma_f64 v[42:43], v[132:133], s[12:13], v[44:45]
	s_delay_alu instid0(VALU_DEP_3) | instskip(SKIP_2) | instid1(VALU_DEP_4)
	v_fma_f64 v[139:140], v[114:115], s[12:13], -v[46:47]
	v_fma_f64 v[36:37], v[114:115], s[12:13], v[46:47]
	v_mul_f64 v[46:47], v[128:129], s[30:31]
	v_add_f64 v[42:43], v[42:43], v[141:142]
	s_delay_alu instid0(VALU_DEP_4) | instskip(SKIP_2) | instid1(VALU_DEP_2)
	v_add_f64 v[32:33], v[139:140], v[32:33]
	v_mul_f64 v[139:140], v[118:119], s[20:21]
	v_add_f64 v[28:29], v[36:37], v[28:29]
	v_fma_f64 v[151:152], v[116:117], s[12:13], v[139:140]
	v_fma_f64 v[36:37], v[116:117], s[12:13], -v[139:140]
	s_delay_alu instid0(VALU_DEP_2) | instskip(SKIP_1) | instid1(VALU_DEP_3)
	v_add_f64 v[34:35], v[151:152], v[34:35]
	v_mul_f64 v[151:152], v[112:113], s[22:23]
	v_add_f64 v[30:31], v[36:37], v[30:31]
	s_delay_alu instid0(VALU_DEP_2) | instskip(SKIP_1) | instid1(VALU_DEP_2)
	v_fma_f64 v[161:162], v[70:71], s[8:9], -v[151:152]
	v_fma_f64 v[36:37], v[70:71], s[8:9], v[151:152]
	v_add_f64 v[32:33], v[161:162], v[32:33]
	v_mul_f64 v[161:162], v[110:111], s[22:23]
	s_delay_alu instid0(VALU_DEP_3) | instskip(NEXT) | instid1(VALU_DEP_2)
	v_add_f64 v[28:29], v[36:37], v[28:29]
	v_fma_f64 v[163:164], v[68:69], s[8:9], v[161:162]
	v_fma_f64 v[36:37], v[68:69], s[8:9], -v[161:162]
	s_delay_alu instid0(VALU_DEP_2) | instskip(SKIP_1) | instid1(VALU_DEP_3)
	v_add_f64 v[34:35], v[163:164], v[34:35]
	v_mul_f64 v[163:164], v[102:103], s[30:31]
	v_add_f64 v[30:31], v[36:37], v[30:31]
	s_delay_alu instid0(VALU_DEP_2) | instskip(SKIP_1) | instid1(VALU_DEP_2)
	v_fma_f64 v[165:166], v[106:107], s[0:1], -v[163:164]
	v_fma_f64 v[36:37], v[106:107], s[0:1], v[163:164]
	v_add_f64 v[32:33], v[165:166], v[32:33]
	v_mul_f64 v[165:166], v[100:101], s[30:31]
	s_delay_alu instid0(VALU_DEP_3) | instskip(SKIP_1) | instid1(VALU_DEP_3)
	v_add_f64 v[28:29], v[36:37], v[28:29]
	v_mul_f64 v[36:37], v[136:137], s[20:21]
	v_fma_f64 v[40:41], v[108:109], s[0:1], -v[165:166]
	v_fma_f64 v[167:168], v[108:109], s[0:1], v[165:166]
	s_delay_alu instid0(VALU_DEP_2) | instskip(NEXT) | instid1(VALU_DEP_4)
	v_add_f64 v[30:31], v[40:41], v[30:31]
	v_fma_f64 v[40:41], v[130:131], s[12:13], -v[36:37]
	v_fma_f64 v[36:37], v[130:131], s[12:13], v[36:37]
	s_delay_alu instid0(VALU_DEP_4) | instskip(NEXT) | instid1(VALU_DEP_3)
	v_add_f64 v[34:35], v[167:168], v[34:35]
	v_add_f64 v[40:41], v[40:41], v[48:49]
	v_fma_f64 v[48:49], v[122:123], s[0:1], -v[46:47]
	s_delay_alu instid0(VALU_DEP_4) | instskip(SKIP_2) | instid1(VALU_DEP_4)
	v_add_f64 v[36:37], v[36:37], v[38:39]
	v_fma_f64 v[38:39], v[132:133], s[12:13], -v[44:45]
	v_fma_f64 v[44:45], v[122:123], s[0:1], v[46:47]
	v_add_f64 v[40:41], v[48:49], v[40:41]
	v_mul_f64 v[48:49], v[126:127], s[30:31]
	s_delay_alu instid0(VALU_DEP_4) | instskip(NEXT) | instid1(VALU_DEP_4)
	v_add_f64 v[38:39], v[38:39], v[62:63]
	v_add_f64 v[36:37], v[44:45], v[36:37]
	v_mul_f64 v[62:63], v[134:135], s[30:31]
	s_delay_alu instid0(VALU_DEP_4) | instskip(SKIP_1) | instid1(VALU_DEP_3)
	v_fma_f64 v[139:140], v[124:125], s[0:1], v[48:49]
	v_fma_f64 v[44:45], v[124:125], s[0:1], -v[48:49]
	v_fma_f64 v[48:49], v[132:133], s[0:1], v[62:63]
	v_fma_f64 v[62:63], v[132:133], s[0:1], -v[62:63]
	s_delay_alu instid0(VALU_DEP_4)
	v_add_f64 v[42:43], v[139:140], v[42:43]
	v_mul_f64 v[139:140], v[120:121], s[42:43]
	v_add_f64 v[38:39], v[44:45], v[38:39]
	v_add_f64 v[48:49], v[48:49], v[143:144]
	v_mul_f64 v[143:144], v[120:121], s[36:37]
	v_add_f64 v[62:63], v[62:63], v[64:65]
	v_fma_f64 v[141:142], v[114:115], s[8:9], -v[139:140]
	v_fma_f64 v[44:45], v[114:115], s[8:9], v[139:140]
	v_mul_f64 v[139:140], v[128:129], s[38:39]
	s_delay_alu instid0(VALU_DEP_3) | instskip(SKIP_1) | instid1(VALU_DEP_4)
	v_add_f64 v[40:41], v[141:142], v[40:41]
	v_mul_f64 v[141:142], v[118:119], s[42:43]
	v_add_f64 v[36:37], v[44:45], v[36:37]
	s_delay_alu instid0(VALU_DEP_4) | instskip(NEXT) | instid1(VALU_DEP_3)
	v_fma_f64 v[64:65], v[122:123], s[12:13], v[139:140]
	v_fma_f64 v[151:152], v[116:117], s[8:9], v[141:142]
	v_fma_f64 v[44:45], v[116:117], s[8:9], -v[141:142]
	v_mul_f64 v[141:142], v[126:127], s[38:39]
	s_delay_alu instid0(VALU_DEP_3) | instskip(SKIP_1) | instid1(VALU_DEP_4)
	v_add_f64 v[42:43], v[151:152], v[42:43]
	v_mul_f64 v[151:152], v[112:113], s[34:35]
	v_add_f64 v[38:39], v[44:45], v[38:39]
	s_delay_alu instid0(VALU_DEP_2) | instskip(SKIP_2) | instid1(VALU_DEP_3)
	v_fma_f64 v[161:162], v[70:71], s[14:15], -v[151:152]
	v_fma_f64 v[44:45], v[70:71], s[14:15], v[151:152]
	v_mul_f64 v[151:152], v[118:119], s[36:37]
	v_add_f64 v[40:41], v[161:162], v[40:41]
	v_mul_f64 v[161:162], v[110:111], s[34:35]
	s_delay_alu instid0(VALU_DEP_4) | instskip(NEXT) | instid1(VALU_DEP_2)
	v_add_f64 v[36:37], v[44:45], v[36:37]
	v_fma_f64 v[163:164], v[68:69], s[14:15], v[161:162]
	v_fma_f64 v[44:45], v[68:69], s[14:15], -v[161:162]
	v_mul_f64 v[161:162], v[112:113], s[26:27]
	s_delay_alu instid0(VALU_DEP_3) | instskip(SKIP_1) | instid1(VALU_DEP_4)
	v_add_f64 v[42:43], v[163:164], v[42:43]
	v_mul_f64 v[163:164], v[102:103], s[36:37]
	v_add_f64 v[38:39], v[44:45], v[38:39]
	s_delay_alu instid0(VALU_DEP_2) | instskip(SKIP_2) | instid1(VALU_DEP_3)
	v_fma_f64 v[165:166], v[106:107], s[18:19], -v[163:164]
	v_fma_f64 v[44:45], v[106:107], s[18:19], v[163:164]
	v_mul_f64 v[163:164], v[110:111], s[26:27]
	v_add_f64 v[40:41], v[165:166], v[40:41]
	v_mul_f64 v[165:166], v[100:101], s[36:37]
	s_delay_alu instid0(VALU_DEP_4) | instskip(SKIP_1) | instid1(VALU_DEP_3)
	v_add_f64 v[36:37], v[44:45], v[36:37]
	v_mul_f64 v[44:45], v[136:137], s[30:31]
	v_fma_f64 v[46:47], v[108:109], s[18:19], -v[165:166]
	v_fma_f64 v[167:168], v[108:109], s[18:19], v[165:166]
	v_mul_f64 v[165:166], v[102:103], s[22:23]
	s_delay_alu instid0(VALU_DEP_3) | instskip(SKIP_3) | instid1(VALU_DEP_3)
	v_add_f64 v[38:39], v[46:47], v[38:39]
	v_fma_f64 v[46:47], v[130:131], s[0:1], -v[44:45]
	v_fma_f64 v[44:45], v[130:131], s[0:1], v[44:45]
	v_add_f64 v[42:43], v[167:168], v[42:43]
	v_add_f64 v[46:47], v[46:47], v[50:51]
	v_fma_f64 v[50:51], v[122:123], s[12:13], -v[139:140]
	s_delay_alu instid0(VALU_DEP_4) | instskip(NEXT) | instid1(VALU_DEP_2)
	v_add_f64 v[44:45], v[44:45], v[145:146]
	v_add_f64 v[46:47], v[50:51], v[46:47]
	v_fma_f64 v[50:51], v[124:125], s[12:13], v[141:142]
	s_delay_alu instid0(VALU_DEP_3) | instskip(SKIP_2) | instid1(VALU_DEP_4)
	v_add_f64 v[44:45], v[64:65], v[44:45]
	v_fma_f64 v[64:65], v[124:125], s[12:13], -v[141:142]
	v_mul_f64 v[141:142], v[128:129], s[36:37]
	v_add_f64 v[48:49], v[50:51], v[48:49]
	v_fma_f64 v[50:51], v[114:115], s[18:19], -v[143:144]
	s_delay_alu instid0(VALU_DEP_4) | instskip(SKIP_2) | instid1(VALU_DEP_4)
	v_add_f64 v[62:63], v[64:65], v[62:63]
	v_fma_f64 v[64:65], v[114:115], s[18:19], v[143:144]
	v_fma_f64 v[143:144], v[122:123], s[18:19], -v[141:142]
	v_add_f64 v[46:47], v[50:51], v[46:47]
	v_fma_f64 v[50:51], v[116:117], s[18:19], v[151:152]
	s_delay_alu instid0(VALU_DEP_4) | instskip(SKIP_1) | instid1(VALU_DEP_3)
	v_add_f64 v[44:45], v[64:65], v[44:45]
	v_fma_f64 v[64:65], v[116:117], s[18:19], -v[151:152]
	v_add_f64 v[48:49], v[50:51], v[48:49]
	v_fma_f64 v[50:51], v[70:71], s[16:17], -v[161:162]
	s_delay_alu instid0(VALU_DEP_3) | instskip(SKIP_1) | instid1(VALU_DEP_3)
	v_add_f64 v[62:63], v[64:65], v[62:63]
	v_fma_f64 v[64:65], v[70:71], s[16:17], v[161:162]
	v_add_f64 v[46:47], v[50:51], v[46:47]
	v_fma_f64 v[50:51], v[68:69], s[16:17], v[163:164]
	s_delay_alu instid0(VALU_DEP_3) | instskip(SKIP_1) | instid1(VALU_DEP_3)
	v_add_f64 v[44:45], v[64:65], v[44:45]
	v_fma_f64 v[64:65], v[68:69], s[16:17], -v[163:164]
	v_add_f64 v[50:51], v[50:51], v[48:49]
	v_fma_f64 v[48:49], v[106:107], s[8:9], -v[165:166]
	s_delay_alu instid0(VALU_DEP_3) | instskip(SKIP_1) | instid1(VALU_DEP_3)
	v_add_f64 v[62:63], v[64:65], v[62:63]
	v_fma_f64 v[64:65], v[106:107], s[8:9], v[165:166]
	v_add_f64 v[48:49], v[48:49], v[46:47]
	v_mul_f64 v[46:47], v[100:101], s[22:23]
	s_delay_alu instid0(VALU_DEP_3) | instskip(NEXT) | instid1(VALU_DEP_2)
	v_add_f64 v[44:45], v[64:65], v[44:45]
	v_fma_f64 v[167:168], v[108:109], s[8:9], v[46:47]
	v_fma_f64 v[46:47], v[108:109], s[8:9], -v[46:47]
	s_delay_alu instid0(VALU_DEP_2) | instskip(NEXT) | instid1(VALU_DEP_2)
	v_add_f64 v[50:51], v[167:168], v[50:51]
	v_add_f64 v[46:47], v[46:47], v[62:63]
	v_mul_f64 v[62:63], v[136:137], s[42:43]
	s_delay_alu instid0(VALU_DEP_1) | instskip(SKIP_1) | instid1(VALU_DEP_2)
	v_fma_f64 v[64:65], v[130:131], s[8:9], -v[62:63]
	v_fma_f64 v[62:63], v[130:131], s[8:9], v[62:63]
	v_add_f64 v[56:57], v[64:65], v[56:57]
	v_mul_f64 v[64:65], v[134:135], s[42:43]
	s_delay_alu instid0(VALU_DEP_3) | instskip(NEXT) | instid1(VALU_DEP_3)
	v_add_f64 v[62:63], v[62:63], v[153:154]
	v_add_f64 v[56:57], v[143:144], v[56:57]
	s_delay_alu instid0(VALU_DEP_3) | instskip(SKIP_2) | instid1(VALU_DEP_3)
	v_fma_f64 v[139:140], v[132:133], s[8:9], v[64:65]
	v_mul_f64 v[143:144], v[126:127], s[36:37]
	v_fma_f64 v[64:65], v[132:133], s[8:9], -v[64:65]
	v_add_f64 v[139:140], v[139:140], v[147:148]
	s_delay_alu instid0(VALU_DEP_3) | instskip(NEXT) | instid1(VALU_DEP_3)
	v_fma_f64 v[145:146], v[124:125], s[18:19], v[143:144]
	v_add_f64 v[64:65], v[64:65], v[66:67]
	v_fma_f64 v[66:67], v[122:123], s[18:19], v[141:142]
	s_delay_alu instid0(VALU_DEP_3) | instskip(SKIP_1) | instid1(VALU_DEP_3)
	v_add_f64 v[139:140], v[145:146], v[139:140]
	v_mul_f64 v[145:146], v[120:121], s[24:25]
	v_add_f64 v[62:63], v[66:67], v[62:63]
	v_fma_f64 v[66:67], v[124:125], s[18:19], -v[143:144]
	s_delay_alu instid0(VALU_DEP_3) | instskip(NEXT) | instid1(VALU_DEP_2)
	v_fma_f64 v[147:148], v[114:115], s[14:15], -v[145:146]
	v_add_f64 v[64:65], v[66:67], v[64:65]
	v_fma_f64 v[66:67], v[114:115], s[14:15], v[145:146]
	s_delay_alu instid0(VALU_DEP_3) | instskip(SKIP_1) | instid1(VALU_DEP_3)
	v_add_f64 v[56:57], v[147:148], v[56:57]
	v_mul_f64 v[147:148], v[118:119], s[24:25]
	v_add_f64 v[62:63], v[66:67], v[62:63]
	s_delay_alu instid0(VALU_DEP_2) | instskip(SKIP_1) | instid1(VALU_DEP_2)
	v_fma_f64 v[151:152], v[116:117], s[14:15], v[147:148]
	v_fma_f64 v[66:67], v[116:117], s[14:15], -v[147:148]
	v_add_f64 v[139:140], v[151:152], v[139:140]
	v_mul_f64 v[151:152], v[112:113], s[44:45]
	s_delay_alu instid0(VALU_DEP_3) | instskip(NEXT) | instid1(VALU_DEP_2)
	v_add_f64 v[64:65], v[66:67], v[64:65]
	v_fma_f64 v[161:162], v[70:71], s[0:1], -v[151:152]
	v_fma_f64 v[66:67], v[70:71], s[0:1], v[151:152]
	v_mul_f64 v[152:153], v[118:119], s[44:45]
	v_mul_f64 v[118:119], v[118:119], s[40:41]
	s_delay_alu instid0(VALU_DEP_4) | instskip(SKIP_2) | instid1(VALU_DEP_2)
	v_add_f64 v[56:57], v[161:162], v[56:57]
	v_mul_f64 v[161:162], v[110:111], s[44:45]
	v_add_f64 v[62:63], v[66:67], v[62:63]
	v_fma_f64 v[163:164], v[68:69], s[0:1], v[161:162]
	v_fma_f64 v[66:67], v[68:69], s[0:1], -v[161:162]
	v_mul_f64 v[161:162], v[112:113], s[36:37]
	v_mul_f64 v[112:113], v[112:113], s[20:21]
	s_delay_alu instid0(VALU_DEP_4) | instskip(SKIP_2) | instid1(VALU_DEP_2)
	v_add_f64 v[139:140], v[163:164], v[139:140]
	v_mul_f64 v[163:164], v[102:103], s[40:41]
	v_add_f64 v[64:65], v[66:67], v[64:65]
	v_fma_f64 v[165:166], v[106:107], s[16:17], -v[163:164]
	v_fma_f64 v[66:67], v[106:107], s[16:17], v[163:164]
	v_mul_f64 v[163:164], v[110:111], s[36:37]
	v_mul_f64 v[110:111], v[110:111], s[20:21]
	s_delay_alu instid0(VALU_DEP_4) | instskip(SKIP_1) | instid1(VALU_DEP_1)
	v_add_f64 v[252:253], v[165:166], v[56:57]
	v_mul_f64 v[56:57], v[100:101], s[40:41]
	v_fma_f64 v[165:166], v[108:109], s[16:17], v[56:57]
	v_fma_f64 v[56:57], v[108:109], s[16:17], -v[56:57]
	s_delay_alu instid0(VALU_DEP_2) | instskip(NEXT) | instid1(VALU_DEP_2)
	v_add_f64 v[254:255], v[165:166], v[139:140]
	v_add_f64 v[142:143], v[56:57], v[64:65]
	v_mul_f64 v[56:57], v[136:137], s[34:35]
	v_add_f64 v[140:141], v[66:67], v[62:63]
	v_mul_f64 v[66:67], v[128:129], s[26:27]
	v_mul_f64 v[165:166], v[102:103], s[20:21]
	;; [unrolled: 1-line block ×3, first 2 shown]
	v_fma_f64 v[62:63], v[130:131], s[14:15], -v[56:57]
	v_fma_f64 v[56:57], v[130:131], s[14:15], v[56:57]
	v_fma_f64 v[144:145], v[122:123], s[16:17], -v[66:67]
	s_delay_alu instid0(VALU_DEP_3) | instskip(SKIP_1) | instid1(VALU_DEP_4)
	v_add_f64 v[58:59], v[62:63], v[58:59]
	v_mul_f64 v[62:63], v[134:135], s[34:35]
	v_add_f64 v[56:57], v[56:57], v[155:156]
	s_delay_alu instid0(VALU_DEP_3) | instskip(NEXT) | instid1(VALU_DEP_3)
	v_add_f64 v[58:59], v[144:145], v[58:59]
	v_fma_f64 v[64:65], v[132:133], s[14:15], v[62:63]
	v_fma_f64 v[62:63], v[132:133], s[14:15], -v[62:63]
	s_delay_alu instid0(VALU_DEP_2) | instskip(SKIP_2) | instid1(VALU_DEP_4)
	v_add_f64 v[64:65], v[64:65], v[149:150]
	v_mul_f64 v[148:149], v[126:127], s[26:27]
	v_mul_f64 v[150:151], v[120:121], s[44:45]
	v_add_f64 v[62:63], v[62:63], v[157:158]
	v_mul_f64 v[120:121], v[120:121], s[40:41]
	s_delay_alu instid0(VALU_DEP_4) | instskip(NEXT) | instid1(VALU_DEP_1)
	v_fma_f64 v[144:145], v[124:125], s[16:17], v[148:149]
	v_add_f64 v[64:65], v[144:145], v[64:65]
	v_fma_f64 v[144:145], v[114:115], s[0:1], -v[150:151]
	s_delay_alu instid0(VALU_DEP_1) | instskip(SKIP_1) | instid1(VALU_DEP_1)
	v_add_f64 v[58:59], v[144:145], v[58:59]
	v_fma_f64 v[144:145], v[116:117], s[0:1], v[152:153]
	v_add_f64 v[64:65], v[144:145], v[64:65]
	v_fma_f64 v[144:145], v[70:71], s[18:19], -v[161:162]
	s_delay_alu instid0(VALU_DEP_1) | instskip(SKIP_1) | instid1(VALU_DEP_1)
	v_add_f64 v[58:59], v[144:145], v[58:59]
	v_fma_f64 v[144:145], v[68:69], s[18:19], v[163:164]
	v_add_f64 v[64:65], v[144:145], v[64:65]
	v_fma_f64 v[144:145], v[106:107], s[12:13], -v[165:166]
	s_delay_alu instid0(VALU_DEP_1) | instskip(SKIP_2) | instid1(VALU_DEP_2)
	v_add_f64 v[144:145], v[144:145], v[58:59]
	v_mul_f64 v[58:59], v[100:101], s[20:21]
	v_mul_f64 v[100:101], v[100:101], s[34:35]
	v_fma_f64 v[146:147], v[108:109], s[12:13], v[58:59]
	v_fma_f64 v[58:59], v[108:109], s[12:13], -v[58:59]
	s_delay_alu instid0(VALU_DEP_2) | instskip(SKIP_1) | instid1(VALU_DEP_1)
	v_add_f64 v[146:147], v[146:147], v[64:65]
	v_fma_f64 v[64:65], v[122:123], s[16:17], v[66:67]
	v_add_f64 v[56:57], v[64:65], v[56:57]
	v_fma_f64 v[64:65], v[124:125], s[16:17], -v[148:149]
	s_delay_alu instid0(VALU_DEP_1) | instskip(SKIP_1) | instid1(VALU_DEP_1)
	v_add_f64 v[62:63], v[64:65], v[62:63]
	v_fma_f64 v[64:65], v[114:115], s[0:1], v[150:151]
	v_add_f64 v[56:57], v[64:65], v[56:57]
	v_fma_f64 v[64:65], v[116:117], s[0:1], -v[152:153]
	s_delay_alu instid0(VALU_DEP_1) | instskip(SKIP_1) | instid1(VALU_DEP_1)
	v_add_f64 v[62:63], v[64:65], v[62:63]
	v_fma_f64 v[64:65], v[70:71], s[18:19], v[161:162]
	v_add_f64 v[56:57], v[64:65], v[56:57]
	v_fma_f64 v[64:65], v[68:69], s[18:19], -v[163:164]
	s_delay_alu instid0(VALU_DEP_1) | instskip(SKIP_1) | instid1(VALU_DEP_2)
	v_add_f64 v[62:63], v[64:65], v[62:63]
	v_fma_f64 v[64:65], v[106:107], s[12:13], v[165:166]
	v_add_f64 v[150:151], v[58:59], v[62:63]
	s_delay_alu instid0(VALU_DEP_2) | instskip(SKIP_4) | instid1(VALU_DEP_4)
	v_add_f64 v[148:149], v[64:65], v[56:57]
	v_mul_f64 v[56:57], v[136:137], s[36:37]
	v_mul_f64 v[64:65], v[128:129], s[22:23]
	v_add_f64 v[136:137], v[94:95], -v[22:23]
	v_add_f64 v[128:129], v[92:93], -v[20:21]
	v_fma_f64 v[58:59], v[130:131], s[18:19], -v[56:57]
	s_delay_alu instid0(VALU_DEP_4) | instskip(SKIP_1) | instid1(VALU_DEP_4)
	v_fma_f64 v[66:67], v[122:123], s[8:9], -v[64:65]
	v_fma_f64 v[56:57], v[130:131], s[18:19], v[56:57]
	v_mul_f64 v[168:169], v[128:129], s[34:35]
	v_mul_f64 v[206:207], v[128:129], s[44:45]
	v_add_f64 v[58:59], v[58:59], v[60:61]
	v_mul_f64 v[60:61], v[134:135], s[36:37]
	v_add_f64 v[52:53], v[56:57], v[52:53]
	v_fma_f64 v[56:57], v[114:115], s[16:17], v[120:121]
	v_mul_f64 v[134:135], v[220:221], s[42:43]
	v_add_f64 v[58:59], v[66:67], v[58:59]
	v_fma_f64 v[62:63], v[132:133], s[18:19], v[60:61]
	v_mul_f64 v[66:67], v[126:127], s[22:23]
	s_delay_alu instid0(VALU_DEP_2) | instskip(NEXT) | instid1(VALU_DEP_2)
	v_add_f64 v[62:63], v[62:63], v[159:160]
	v_fma_f64 v[126:127], v[124:125], s[8:9], v[66:67]
	v_add_f64 v[158:159], v[88:89], -v[76:77]
	s_delay_alu instid0(VALU_DEP_2) | instskip(SKIP_2) | instid1(VALU_DEP_4)
	v_add_f64 v[62:63], v[126:127], v[62:63]
	v_fma_f64 v[126:127], v[114:115], s[16:17], -v[120:121]
	v_add_f64 v[114:115], v[94:95], v[22:23]
	v_mul_f64 v[164:165], v[158:159], s[36:37]
	v_mul_f64 v[182:183], v[158:159], s[22:23]
	v_mul_f64 v[204:205], v[158:159], s[40:41]
	v_add_f64 v[58:59], v[126:127], v[58:59]
	v_fma_f64 v[126:127], v[116:117], s[16:17], v[118:119]
	s_delay_alu instid0(VALU_DEP_1) | instskip(SKIP_1) | instid1(VALU_DEP_1)
	v_add_f64 v[62:63], v[126:127], v[62:63]
	v_fma_f64 v[126:127], v[70:71], s[12:13], -v[112:113]
	v_add_f64 v[58:59], v[126:127], v[58:59]
	v_fma_f64 v[126:127], v[68:69], s[12:13], v[110:111]
	s_delay_alu instid0(VALU_DEP_1) | instskip(SKIP_1) | instid1(VALU_DEP_1)
	v_add_f64 v[62:63], v[126:127], v[62:63]
	v_fma_f64 v[126:127], v[106:107], s[14:15], -v[102:103]
	v_add_f64 v[152:153], v[126:127], v[58:59]
	v_fma_f64 v[58:59], v[108:109], s[14:15], v[100:101]
	v_add_f64 v[126:127], v[96:97], -v[12:13]
	s_delay_alu instid0(VALU_DEP_2)
	v_add_f64 v[154:155], v[58:59], v[62:63]
	v_fma_f64 v[58:59], v[132:133], s[18:19], -v[60:61]
	v_fma_f64 v[60:61], v[122:123], s[8:9], v[64:65]
	v_fma_f64 v[62:63], v[124:125], s[8:9], -v[66:67]
	v_add_f64 v[122:123], v[80:81], -v[4:5]
	v_add_f64 v[124:125], v[84:85], -v[8:9]
	v_add_f64 v[64:65], v[96:97], v[12:13]
	v_mul_f64 v[250:251], v[126:127], s[42:43]
	v_mul_f64 v[170:171], v[126:127], s[36:37]
	v_mul_f64 v[196:197], v[126:127], s[24:25]
	v_add_f64 v[54:55], v[58:59], v[54:55]
	v_fma_f64 v[58:59], v[116:117], s[16:17], -v[118:119]
	v_add_f64 v[52:53], v[60:61], v[52:53]
	v_fma_f64 v[60:61], v[70:71], s[12:13], v[112:113]
	v_add_f64 v[118:119], v[90:91], v[78:79]
	v_mul_f64 v[156:157], v[122:123], s[30:31]
	v_mul_f64 v[166:167], v[124:125], s[38:39]
	;; [unrolled: 1-line block ×6, first 2 shown]
	v_add_f64 v[54:55], v[62:63], v[54:55]
	v_mul_f64 v[62:63], v[218:219], s[24:25]
	v_add_f64 v[52:53], v[56:57], v[52:53]
	v_fma_f64 v[56:57], v[68:69], s[12:13], -v[110:111]
	v_add_f64 v[68:69], v[86:87], v[10:11]
	v_add_f64 v[110:111], v[88:89], v[76:77]
	;; [unrolled: 1-line block ×3, first 2 shown]
	v_fma_f64 v[58:59], v[108:109], s[14:15], -v[100:101]
	v_add_f64 v[52:53], v[60:61], v[52:53]
	v_add_f64 v[60:61], v[82:83], v[6:7]
	;; [unrolled: 1-line block ×3, first 2 shown]
	scratch_store_b64 off, v[62:63], off offset:364 ; 8-byte Folded Spill
	v_add_f64 v[54:55], v[56:57], v[54:55]
	v_fma_f64 v[56:57], v[106:107], s[14:15], v[102:103]
	v_add_f64 v[106:107], v[98:99], v[14:15]
	v_mul_f64 v[102:103], v[124:125], s[30:31]
	s_delay_alu instid0(VALU_DEP_4) | instskip(NEXT) | instid1(VALU_DEP_4)
	v_add_f64 v[132:133], v[58:59], v[54:55]
	v_add_f64 v[130:131], v[56:57], v[52:53]
	v_fma_f64 v[52:53], v[222:223], s[18:19], v[224:225]
	v_mul_f64 v[56:57], v[220:221], s[26:27]
	v_mul_f64 v[58:59], v[122:123], s[26:27]
	s_delay_alu instid0(VALU_DEP_3)
	v_add_f64 v[54:55], v[16:17], v[52:53]
	v_add_f64 v[52:53], v[80:81], v[4:5]
	s_clause 0x1
	scratch_store_b64 off, v[56:57], off offset:348
	scratch_store_b64 off, v[58:59], off offset:380
	v_fma_f64 v[58:59], v[60:61], s[16:17], -v[58:59]
	v_fma_f64 v[56:57], v[52:53], s[16:17], v[56:57]
	s_delay_alu instid0(VALU_DEP_1) | instskip(SKIP_1) | instid1(VALU_DEP_1)
	v_add_f64 v[54:55], v[56:57], v[54:55]
	v_fma_f64 v[56:57], v[228:229], s[18:19], -v[230:231]
	v_add_f64 v[56:57], v[18:19], v[56:57]
	s_delay_alu instid0(VALU_DEP_1) | instskip(SKIP_1) | instid1(VALU_DEP_1)
	v_add_f64 v[58:59], v[58:59], v[56:57]
	v_add_f64 v[56:57], v[84:85], v[8:9]
	v_fma_f64 v[62:63], v[56:57], s[14:15], v[62:63]
	s_delay_alu instid0(VALU_DEP_1) | instskip(SKIP_3) | instid1(VALU_DEP_1)
	v_add_f64 v[54:55], v[62:63], v[54:55]
	v_mul_f64 v[62:63], v[124:125], s[24:25]
	scratch_store_b64 off, v[62:63], off offset:412 ; 8-byte Folded Spill
	v_fma_f64 v[62:63], v[68:69], s[14:15], -v[62:63]
	v_add_f64 v[58:59], v[62:63], v[58:59]
	v_mul_f64 v[62:63], v[210:211], s[20:21]
	scratch_store_b64 off, v[62:63], off offset:396 ; 8-byte Folded Spill
	v_fma_f64 v[62:63], v[64:65], s[12:13], v[62:63]
	s_delay_alu instid0(VALU_DEP_1) | instskip(SKIP_3) | instid1(VALU_DEP_1)
	v_add_f64 v[54:55], v[62:63], v[54:55]
	v_mul_f64 v[62:63], v[126:127], s[20:21]
	scratch_store_b64 off, v[62:63], off offset:444 ; 8-byte Folded Spill
	v_fma_f64 v[62:63], v[106:107], s[12:13], -v[62:63]
	v_add_f64 v[58:59], v[62:63], v[58:59]
	v_mul_f64 v[62:63], v[136:137], s[22:23]
	scratch_store_b64 off, v[62:63], off offset:428 ; 8-byte Folded Spill
	;; [unrolled: 9-line block ×3, first 2 shown]
	v_fma_f64 v[62:63], v[110:111], s[0:1], v[62:63]
	s_delay_alu instid0(VALU_DEP_1)
	v_add_f64 v[160:161], v[62:63], v[54:55]
	v_mul_f64 v[54:55], v[158:159], s[30:31]
	v_mul_f64 v[62:63], v[122:123], s[20:21]
	scratch_store_b64 off, v[54:55], off offset:492 ; 8-byte Folded Spill
	v_fma_f64 v[54:55], v[118:119], s[0:1], -v[54:55]
	v_fma_f64 v[66:67], v[60:61], s[12:13], -v[62:63]
	s_delay_alu instid0(VALU_DEP_2) | instskip(SKIP_2) | instid1(VALU_DEP_2)
	v_add_f64 v[162:163], v[54:55], v[58:59]
	v_fma_f64 v[54:55], v[222:223], s[16:17], v[234:235]
	v_mul_f64 v[58:59], v[220:221], s[20:21]
	v_add_f64 v[54:55], v[16:17], v[54:55]
	scratch_store_b64 off, v[58:59], off offset:508 ; 8-byte Folded Spill
	v_fma_f64 v[58:59], v[52:53], s[12:13], v[58:59]
	s_delay_alu instid0(VALU_DEP_1) | instskip(SKIP_1) | instid1(VALU_DEP_1)
	v_add_f64 v[54:55], v[58:59], v[54:55]
	v_fma_f64 v[58:59], v[228:229], s[16:17], -v[236:237]
	v_add_f64 v[58:59], v[18:19], v[58:59]
	s_delay_alu instid0(VALU_DEP_1) | instskip(SKIP_3) | instid1(VALU_DEP_1)
	v_add_f64 v[58:59], v[66:67], v[58:59]
	v_mul_f64 v[66:67], v[218:219], s[30:31]
	scratch_store_b64 off, v[66:67], off offset:540 ; 8-byte Folded Spill
	v_fma_f64 v[66:67], v[56:57], s[0:1], v[66:67]
	v_add_f64 v[66:67], v[66:67], v[54:55]
	v_fma_f64 v[54:55], v[68:69], s[0:1], -v[102:103]
	s_delay_alu instid0(VALU_DEP_1) | instskip(SKIP_1) | instid1(VALU_DEP_1)
	v_add_f64 v[58:59], v[54:55], v[58:59]
	v_mul_f64 v[54:55], v[210:211], s[42:43]
	v_fma_f64 v[70:71], v[64:65], s[8:9], v[54:55]
	s_delay_alu instid0(VALU_DEP_1) | instskip(SKIP_1) | instid1(VALU_DEP_1)
	v_add_f64 v[66:67], v[70:71], v[66:67]
	v_fma_f64 v[70:71], v[106:107], s[8:9], -v[250:251]
	v_add_f64 v[70:71], v[70:71], v[58:59]
	v_mul_f64 v[58:59], v[136:137], s[34:35]
	s_delay_alu instid0(VALU_DEP_1) | instskip(NEXT) | instid1(VALU_DEP_1)
	v_fma_f64 v[108:109], v[100:101], s[14:15], v[58:59]
	v_add_f64 v[66:67], v[108:109], v[66:67]
	v_fma_f64 v[108:109], v[114:115], s[14:15], -v[168:169]
	s_delay_alu instid0(VALU_DEP_1) | instskip(SKIP_3) | instid1(VALU_DEP_1)
	v_add_f64 v[70:71], v[108:109], v[70:71]
	v_mul_f64 v[108:109], v[172:173], s[36:37]
	scratch_store_b64 off, v[108:109], off offset:556 ; 8-byte Folded Spill
	v_fma_f64 v[108:109], v[110:111], s[18:19], v[108:109]
	v_add_f64 v[174:175], v[108:109], v[66:67]
	v_fma_f64 v[66:67], v[118:119], s[18:19], -v[164:165]
	v_fma_f64 v[108:109], v[60:61], s[0:1], -v[156:157]
	s_delay_alu instid0(VALU_DEP_2)
	v_add_f64 v[176:177], v[66:67], v[70:71]
	v_fma_f64 v[66:67], v[222:223], s[14:15], v[238:239]
	v_mul_f64 v[70:71], v[220:221], s[30:31]
	s_clause 0x1
	scratch_store_b128 off, v[160:163], off offset:4
	scratch_store_b128 off, v[174:177], off offset:20
	v_add_f64 v[66:67], v[16:17], v[66:67]
	scratch_store_b64 off, v[70:71], off offset:524 ; 8-byte Folded Spill
	v_fma_f64 v[70:71], v[52:53], s[0:1], v[70:71]
	s_delay_alu instid0(VALU_DEP_1) | instskip(SKIP_1) | instid1(VALU_DEP_1)
	v_add_f64 v[70:71], v[70:71], v[66:67]
	v_fma_f64 v[66:67], v[228:229], s[14:15], -v[240:241]
	v_add_f64 v[66:67], v[18:19], v[66:67]
	s_delay_alu instid0(VALU_DEP_1) | instskip(SKIP_1) | instid1(VALU_DEP_1)
	v_add_f64 v[108:109], v[108:109], v[66:67]
	v_mul_f64 v[66:67], v[218:219], s[38:39]
	v_fma_f64 v[112:113], v[56:57], s[12:13], v[66:67]
	s_delay_alu instid0(VALU_DEP_1) | instskip(SKIP_1) | instid1(VALU_DEP_1)
	v_add_f64 v[70:71], v[112:113], v[70:71]
	v_fma_f64 v[112:113], v[68:69], s[12:13], -v[166:167]
	v_add_f64 v[112:113], v[112:113], v[108:109]
	v_mul_f64 v[108:109], v[210:211], s[36:37]
	s_delay_alu instid0(VALU_DEP_1) | instskip(NEXT) | instid1(VALU_DEP_1)
	v_fma_f64 v[160:161], v[64:65], s[18:19], v[108:109]
	v_add_f64 v[70:71], v[160:161], v[70:71]
	v_fma_f64 v[160:161], v[106:107], s[18:19], -v[170:171]
	s_delay_alu instid0(VALU_DEP_1) | instskip(SKIP_1) | instid1(VALU_DEP_1)
	v_add_f64 v[160:161], v[160:161], v[112:113]
	v_mul_f64 v[112:113], v[136:137], s[26:27]
	v_fma_f64 v[174:175], v[100:101], s[16:17], v[112:113]
	s_delay_alu instid0(VALU_DEP_1) | instskip(SKIP_1) | instid1(VALU_DEP_1)
	v_add_f64 v[176:177], v[174:175], v[70:71]
	v_mul_f64 v[174:175], v[128:129], s[26:27]
	v_fma_f64 v[70:71], v[114:115], s[16:17], -v[174:175]
	s_delay_alu instid0(VALU_DEP_1) | instskip(SKIP_1) | instid1(VALU_DEP_1)
	v_add_f64 v[160:161], v[70:71], v[160:161]
	v_mul_f64 v[70:71], v[172:173], s[22:23]
	v_fma_f64 v[178:179], v[110:111], s[8:9], v[70:71]
	s_delay_alu instid0(VALU_DEP_1) | instskip(SKIP_1) | instid1(VALU_DEP_1)
	v_add_f64 v[178:179], v[178:179], v[176:177]
	v_fma_f64 v[176:177], v[118:119], s[8:9], -v[182:183]
	v_add_f64 v[180:181], v[176:177], v[160:161]
	v_fma_f64 v[160:161], v[222:223], s[12:13], v[242:243]
	scratch_store_b128 off, v[178:181], off offset:36 ; 16-byte Folded Spill
	v_add_f64 v[176:177], v[16:17], v[160:161]
	v_fma_f64 v[178:179], v[52:53], s[8:9], v[134:135]
	v_fma_f64 v[180:181], v[60:61], s[8:9], -v[188:189]
	s_delay_alu instid0(VALU_DEP_2) | instskip(SKIP_1) | instid1(VALU_DEP_1)
	v_add_f64 v[176:177], v[178:179], v[176:177]
	v_fma_f64 v[178:179], v[228:229], s[12:13], -v[244:245]
	v_add_f64 v[178:179], v[18:19], v[178:179]
	s_delay_alu instid0(VALU_DEP_1) | instskip(SKIP_1) | instid1(VALU_DEP_1)
	v_add_f64 v[180:181], v[180:181], v[178:179]
	v_mul_f64 v[178:179], v[218:219], s[36:37]
	v_fma_f64 v[184:185], v[56:57], s[18:19], v[178:179]
	s_delay_alu instid0(VALU_DEP_1) | instskip(SKIP_1) | instid1(VALU_DEP_1)
	v_add_f64 v[176:177], v[184:185], v[176:177]
	v_fma_f64 v[184:185], v[68:69], s[18:19], -v[190:191]
	v_add_f64 v[180:181], v[184:185], v[180:181]
	v_mul_f64 v[184:185], v[210:211], s[24:25]
	s_delay_alu instid0(VALU_DEP_1) | instskip(NEXT) | instid1(VALU_DEP_1)
	v_fma_f64 v[186:187], v[64:65], s[14:15], v[184:185]
	v_add_f64 v[176:177], v[186:187], v[176:177]
	v_fma_f64 v[186:187], v[106:107], s[14:15], -v[196:197]
	s_delay_alu instid0(VALU_DEP_1) | instskip(SKIP_1) | instid1(VALU_DEP_1)
	v_add_f64 v[180:181], v[186:187], v[180:181]
	v_mul_f64 v[186:187], v[136:137], s[44:45]
	v_fma_f64 v[192:193], v[100:101], s[0:1], v[186:187]
	s_delay_alu instid0(VALU_DEP_1) | instskip(SKIP_1) | instid1(VALU_DEP_1)
	v_add_f64 v[176:177], v[192:193], v[176:177]
	v_fma_f64 v[192:193], v[114:115], s[0:1], -v[206:207]
	v_add_f64 v[192:193], v[192:193], v[180:181]
	v_mul_f64 v[180:181], v[172:173], s[40:41]
	s_delay_alu instid0(VALU_DEP_1) | instskip(NEXT) | instid1(VALU_DEP_1)
	v_fma_f64 v[194:195], v[110:111], s[16:17], v[180:181]
	v_add_f64 v[198:199], v[194:195], v[176:177]
	v_fma_f64 v[176:177], v[118:119], s[16:17], -v[204:205]
	s_delay_alu instid0(VALU_DEP_1)
	v_add_f64 v[200:201], v[176:177], v[192:193]
	v_fma_f64 v[176:177], v[222:223], s[8:9], v[246:247]
	scratch_store_b128 off, v[198:201], off offset:52 ; 16-byte Folded Spill
	v_add_f64 v[192:193], v[16:17], v[176:177]
	v_mul_f64 v[176:177], v[220:221], s[34:35]
	v_fma_f64 v[198:199], v[60:61], s[14:15], -v[202:203]
	s_delay_alu instid0(VALU_DEP_2) | instskip(NEXT) | instid1(VALU_DEP_1)
	v_fma_f64 v[194:195], v[52:53], s[14:15], v[176:177]
	v_add_f64 v[194:195], v[194:195], v[192:193]
	v_fma_f64 v[192:193], v[228:229], s[8:9], -v[248:249]
	s_delay_alu instid0(VALU_DEP_1) | instskip(NEXT) | instid1(VALU_DEP_1)
	v_add_f64 v[192:193], v[18:19], v[192:193]
	v_add_f64 v[198:199], v[198:199], v[192:193]
	v_mul_f64 v[192:193], v[218:219], s[26:27]
	s_delay_alu instid0(VALU_DEP_1) | instskip(NEXT) | instid1(VALU_DEP_1)
	v_fma_f64 v[200:201], v[56:57], s[16:17], v[192:193]
	v_add_f64 v[194:195], v[200:201], v[194:195]
	v_fma_f64 v[200:201], v[68:69], s[16:17], -v[208:209]
	s_delay_alu instid0(VALU_DEP_1) | instskip(SKIP_1) | instid1(VALU_DEP_1)
	v_add_f64 v[200:201], v[200:201], v[198:199]
	v_mul_f64 v[198:199], v[210:211], s[44:45]
	v_fma_f64 v[212:213], v[64:65], s[0:1], v[198:199]
	s_delay_alu instid0(VALU_DEP_1) | instskip(SKIP_1) | instid1(VALU_DEP_1)
	v_add_f64 v[194:195], v[212:213], v[194:195]
	v_mul_f64 v[212:213], v[126:127], s[44:45]
	v_fma_f64 v[214:215], v[106:107], s[0:1], -v[212:213]
	s_delay_alu instid0(VALU_DEP_1) | instskip(SKIP_1) | instid1(VALU_DEP_1)
	v_add_f64 v[214:215], v[214:215], v[200:201]
	v_mul_f64 v[200:201], v[136:137], s[36:37]
	v_fma_f64 v[216:217], v[100:101], s[18:19], v[200:201]
	s_delay_alu instid0(VALU_DEP_1) | instskip(SKIP_1) | instid1(VALU_DEP_1)
	v_add_f64 v[116:117], v[216:217], v[194:195]
	v_mul_f64 v[216:217], v[128:129], s[36:37]
	;; [unrolled: 8-line block ×3, first 2 shown]
	v_fma_f64 v[116:117], v[118:119], s[12:13], -v[214:215]
	s_delay_alu instid0(VALU_DEP_1)
	v_add_f64 v[162:163], v[116:117], v[120:121]
	scratch_load_b32 v117, off, off         ; 4-byte Folded Reload
	scratch_store_b128 off, v[160:163], off offset:68 ; 16-byte Folded Spill
	s_waitcnt vmcnt(0)
	s_waitcnt_vscnt null, 0x0
	s_barrier
	buffer_gl0_inv
	v_mul_lo_u16 v116, v117, 13
	s_delay_alu instid0(VALU_DEP_1) | instskip(NEXT) | instid1(VALU_DEP_1)
	v_and_b32_e32 v116, 0xffff, v116
	v_lshlrev_b32_e32 v139, 4, v116
	ds_store_b128 v139, v[24:27]
	ds_store_b128 v139, v[32:35] offset:16
	ds_store_b128 v139, v[40:43] offset:32
	ds_store_b128 v139, v[48:51] offset:48
	ds_store_b128 v139, v[252:255] offset:64
	ds_store_b128 v139, v[144:147] offset:80
	ds_store_b128 v139, v[152:155] offset:96
	ds_store_b128 v139, v[130:133] offset:112
	ds_store_b128 v139, v[148:151] offset:128
	ds_store_b128 v139, v[140:143] offset:144
	ds_store_b128 v139, v[44:47] offset:160
	ds_store_b128 v139, v[36:39] offset:176
	ds_store_b128 v139, v[28:31] offset:192
	v_add_co_u32 v252, s33, 0x5b, v117
	s_delay_alu instid0(VALU_DEP_1) | instskip(NEXT) | instid1(VALU_DEP_2)
	v_add_co_ci_u32_e64 v24, null, 0, 0, s33
	v_mul_u32_u24_e32 v24, 13, v252
	scratch_store_b32 off, v24, off offset:812 ; 4-byte Folded Spill
	s_and_saveexec_b32 s33, vcc_lo
	s_cbranch_execz .LBB0_7
; %bb.6:
	v_add_f64 v[26:27], v[16:17], v[72:73]
	v_add_f64 v[24:25], v[18:19], v[74:75]
	v_mul_f64 v[28:29], v[228:229], s[0:1]
	v_mul_f64 v[34:35], v[222:223], s[8:9]
	;; [unrolled: 1-line block ×12, first 2 shown]
	v_add_f64 v[26:27], v[26:27], v[80:81]
	v_add_f64 v[24:25], v[24:25], v[82:83]
	v_fma_f64 v[30:31], v[232:233], s[44:45], v[28:29]
	v_add_f64 v[34:35], v[34:35], -v[246:247]
	v_add_f64 v[38:39], v[38:39], -v[242:243]
	;; [unrolled: 1-line block ×4, first 2 shown]
	v_fma_f64 v[72:73], v[222:223], s[0:1], v[50:51]
	v_fma_f64 v[50:51], v[222:223], s[0:1], -v[50:51]
	v_add_f64 v[74:75], v[74:75], -v[224:225]
	v_fma_f64 v[28:29], v[232:233], s[30:31], v[28:29]
	v_add_f64 v[32:33], v[248:249], v[32:33]
	v_add_f64 v[36:37], v[244:245], v[36:37]
	;; [unrolled: 1-line block ×21, first 2 shown]
	v_mul_f64 v[86:87], v[172:173], s[34:35]
	v_add_f64 v[26:27], v[26:27], v[96:97]
	v_add_f64 v[24:25], v[24:25], v[98:99]
	s_delay_alu instid0(VALU_DEP_2) | instskip(NEXT) | instid1(VALU_DEP_2)
	v_add_f64 v[26:27], v[26:27], v[92:93]
	v_add_f64 v[24:25], v[24:25], v[94:95]
	s_delay_alu instid0(VALU_DEP_2) | instskip(NEXT) | instid1(VALU_DEP_2)
	v_add_f64 v[26:27], v[26:27], v[88:89]
	v_add_f64 v[24:25], v[24:25], v[90:91]
	v_mul_f64 v[88:89], v[118:119], s[14:15]
	s_delay_alu instid0(VALU_DEP_3) | instskip(NEXT) | instid1(VALU_DEP_3)
	v_add_f64 v[26:27], v[26:27], v[76:77]
	v_add_f64 v[24:25], v[24:25], v[78:79]
	s_delay_alu instid0(VALU_DEP_2) | instskip(SKIP_1) | instid1(VALU_DEP_3)
	v_add_f64 v[78:79], v[26:27], v[20:21]
	v_mul_f64 v[20:21], v[60:61], s[18:19]
	v_add_f64 v[76:77], v[24:25], v[22:23]
	v_mul_f64 v[24:25], v[68:69], s[8:9]
	v_mul_f64 v[22:23], v[220:221], s[36:37]
	s_delay_alu instid0(VALU_DEP_4) | instskip(SKIP_1) | instid1(VALU_DEP_4)
	v_fma_f64 v[16:17], v[122:123], s[28:29], v[20:21]
	v_fma_f64 v[20:21], v[122:123], s[36:37], v[20:21]
	;; [unrolled: 1-line block ×3, first 2 shown]
	s_delay_alu instid0(VALU_DEP_4)
	v_fma_f64 v[18:19], v[52:53], s[18:19], v[22:23]
	v_fma_f64 v[24:25], v[124:125], s[22:23], v[24:25]
	v_fma_f64 v[22:23], v[52:53], s[18:19], -v[22:23]
	v_add_f64 v[16:17], v[16:17], v[30:31]
	v_add_f64 v[20:21], v[20:21], v[28:29]
	scratch_load_b64 v[28:29], off, off offset:508 ; 8-byte Folded Reload
	v_add_f64 v[18:19], v[18:19], v[72:73]
	v_add_f64 v[22:23], v[22:23], v[50:51]
	scratch_load_b64 v[50:51], off, off offset:540 ; 8-byte Folded Reload
	v_add_f64 v[16:17], v[26:27], v[16:17]
	v_mul_f64 v[26:27], v[218:219], s[22:23]
	v_add_f64 v[20:21], v[24:25], v[20:21]
	s_delay_alu instid0(VALU_DEP_2) | instskip(SKIP_2) | instid1(VALU_DEP_3)
	v_fma_f64 v[30:31], v[56:57], s[8:9], v[26:27]
	v_fma_f64 v[24:25], v[56:57], s[8:9], -v[26:27]
	v_fma_f64 v[26:27], v[110:111], s[14:15], -v[86:87]
	v_add_f64 v[18:19], v[30:31], v[18:19]
	v_mul_f64 v[30:31], v[106:107], s[16:17]
	s_delay_alu instid0(VALU_DEP_4) | instskip(NEXT) | instid1(VALU_DEP_2)
	v_add_f64 v[22:23], v[24:25], v[22:23]
	v_fma_f64 v[72:73], v[126:127], s[26:27], v[30:31]
	v_fma_f64 v[30:31], v[126:127], s[40:41], v[30:31]
	s_delay_alu instid0(VALU_DEP_2) | instskip(SKIP_1) | instid1(VALU_DEP_3)
	v_add_f64 v[16:17], v[72:73], v[16:17]
	v_mul_f64 v[72:73], v[210:211], s[40:41]
	v_add_f64 v[20:21], v[30:31], v[20:21]
	v_mul_f64 v[30:31], v[56:57], s[0:1]
	s_delay_alu instid0(VALU_DEP_3) | instskip(SKIP_1) | instid1(VALU_DEP_2)
	v_fma_f64 v[80:81], v[64:65], s[16:17], v[72:73]
	v_fma_f64 v[24:25], v[64:65], s[16:17], -v[72:73]
	v_add_f64 v[18:19], v[80:81], v[18:19]
	v_mul_f64 v[80:81], v[114:115], s[12:13]
	s_delay_alu instid0(VALU_DEP_3) | instskip(NEXT) | instid1(VALU_DEP_2)
	v_add_f64 v[22:23], v[24:25], v[22:23]
	v_fma_f64 v[82:83], v[128:129], s[38:39], v[80:81]
	v_fma_f64 v[80:81], v[128:129], s[20:21], v[80:81]
	s_waitcnt vmcnt(0)
	v_add_f64 v[30:31], v[30:31], -v[50:51]
	v_mul_f64 v[50:51], v[106:107], s[8:9]
	s_delay_alu instid0(VALU_DEP_4) | instskip(SKIP_2) | instid1(VALU_DEP_4)
	v_add_f64 v[16:17], v[82:83], v[16:17]
	v_mul_f64 v[82:83], v[136:137], s[20:21]
	v_add_f64 v[20:21], v[80:81], v[20:21]
	v_add_f64 v[50:51], v[250:251], v[50:51]
	s_delay_alu instid0(VALU_DEP_3) | instskip(SKIP_1) | instid1(VALU_DEP_2)
	v_fma_f64 v[84:85], v[100:101], s[12:13], v[82:83]
	v_fma_f64 v[24:25], v[100:101], s[12:13], -v[82:83]
	v_add_f64 v[84:85], v[84:85], v[18:19]
	v_fma_f64 v[18:19], v[158:159], s[24:25], v[88:89]
	s_delay_alu instid0(VALU_DEP_3) | instskip(NEXT) | instid1(VALU_DEP_2)
	v_add_f64 v[24:25], v[24:25], v[22:23]
	v_add_f64 v[18:19], v[18:19], v[16:17]
	v_fma_f64 v[16:17], v[110:111], s[14:15], v[86:87]
	s_delay_alu instid0(VALU_DEP_1) | instskip(SKIP_1) | instid1(VALU_DEP_1)
	v_add_f64 v[16:17], v[16:17], v[84:85]
	v_fma_f64 v[84:85], v[158:159], s[34:35], v[88:89]
	v_add_f64 v[22:23], v[84:85], v[20:21]
	v_add_f64 v[20:21], v[26:27], v[24:25]
	v_mul_f64 v[26:27], v[52:53], s[12:13]
	v_mul_f64 v[24:25], v[60:61], s[12:13]
	s_delay_alu instid0(VALU_DEP_2) | instskip(NEXT) | instid1(VALU_DEP_2)
	v_add_f64 v[26:27], v[26:27], -v[28:29]
	v_add_f64 v[24:25], v[62:63], v[24:25]
	v_mul_f64 v[28:29], v[68:69], s[0:1]
	v_mul_f64 v[62:63], v[64:65], s[8:9]
	s_delay_alu instid0(VALU_DEP_4)
	v_add_f64 v[26:27], v[26:27], v[46:47]
	scratch_load_b64 v[46:47], off, off offset:556 ; 8-byte Folded Reload
	v_add_f64 v[28:29], v[102:103], v[28:29]
	v_add_f64 v[24:25], v[24:25], v[44:45]
	v_add_f64 v[54:55], v[62:63], -v[54:55]
	v_mul_f64 v[62:63], v[114:115], s[14:15]
	v_mul_f64 v[44:45], v[100:101], s[14:15]
	v_add_f64 v[26:27], v[30:31], v[26:27]
	v_mul_f64 v[30:31], v[110:111], s[18:19]
	v_add_f64 v[24:25], v[28:29], v[24:25]
	;; [unrolled: 2-line block ×3, first 2 shown]
	v_add_f64 v[44:45], v[44:45], -v[58:59]
	v_mul_f64 v[58:59], v[114:115], s[16:17]
	v_add_f64 v[26:27], v[54:55], v[26:27]
	v_mul_f64 v[54:55], v[64:65], s[18:19]
	v_add_f64 v[24:25], v[50:51], v[24:25]
	v_add_f64 v[28:29], v[164:165], v[28:29]
	v_mul_f64 v[50:51], v[106:107], s[18:19]
	v_add_f64 v[58:59], v[174:175], v[58:59]
	v_add_f64 v[44:45], v[44:45], v[26:27]
	v_add_f64 v[54:55], v[54:55], -v[108:109]
	v_add_f64 v[24:25], v[62:63], v[24:25]
	v_add_f64 v[50:51], v[170:171], v[50:51]
	s_delay_alu instid0(VALU_DEP_2) | instskip(SKIP_1) | instid1(VALU_DEP_1)
	v_add_f64 v[26:27], v[28:29], v[24:25]
	v_mul_f64 v[28:29], v[60:61], s[0:1]
	v_add_f64 v[28:29], v[156:157], v[28:29]
	s_delay_alu instid0(VALU_DEP_1) | instskip(SKIP_1) | instid1(VALU_DEP_1)
	v_add_f64 v[28:29], v[28:29], v[40:41]
	v_mul_f64 v[40:41], v[100:101], s[16:17]
	v_add_f64 v[40:41], v[40:41], -v[112:113]
	s_waitcnt vmcnt(0)
	v_add_f64 v[30:31], v[30:31], -v[46:47]
	v_mul_f64 v[46:47], v[56:57], s[12:13]
	s_delay_alu instid0(VALU_DEP_2) | instskip(SKIP_4) | instid1(VALU_DEP_2)
	v_add_f64 v[24:25], v[30:31], v[44:45]
	scratch_load_b64 v[44:45], off, off offset:524 ; 8-byte Folded Reload
	v_mul_f64 v[30:31], v[52:53], s[0:1]
	v_add_f64 v[46:47], v[46:47], -v[66:67]
	s_waitcnt vmcnt(0)
	v_add_f64 v[30:31], v[30:31], -v[44:45]
	v_mul_f64 v[44:45], v[68:69], s[12:13]
	s_delay_alu instid0(VALU_DEP_2) | instskip(NEXT) | instid1(VALU_DEP_2)
	v_add_f64 v[30:31], v[30:31], v[42:43]
	v_add_f64 v[44:45], v[166:167], v[44:45]
	v_mul_f64 v[42:43], v[118:119], s[8:9]
	s_delay_alu instid0(VALU_DEP_3) | instskip(NEXT) | instid1(VALU_DEP_3)
	v_add_f64 v[30:31], v[46:47], v[30:31]
	v_add_f64 v[28:29], v[44:45], v[28:29]
	v_mul_f64 v[44:45], v[110:111], s[8:9]
	s_delay_alu instid0(VALU_DEP_4)
	v_add_f64 v[42:43], v[182:183], v[42:43]
	v_mul_f64 v[46:47], v[56:57], s[18:19]
	v_add_f64 v[30:31], v[54:55], v[30:31]
	v_add_f64 v[28:29], v[50:51], v[28:29]
	v_add_f64 v[44:45], v[44:45], -v[70:71]
	v_mul_f64 v[50:51], v[106:107], s[14:15]
	v_add_f64 v[46:47], v[46:47], -v[178:179]
	v_mul_f64 v[54:55], v[64:65], s[14:15]
	v_add_f64 v[40:41], v[40:41], v[30:31]
	v_add_f64 v[28:29], v[58:59], v[28:29]
	v_mul_f64 v[58:59], v[114:115], s[0:1]
	v_add_f64 v[50:51], v[196:197], v[50:51]
	v_add_f64 v[54:55], v[54:55], -v[184:185]
	s_delay_alu instid0(VALU_DEP_4)
	v_add_f64 v[30:31], v[42:43], v[28:29]
	v_add_f64 v[28:29], v[44:45], v[40:41]
	;; [unrolled: 1-line block ×4, first 2 shown]
	v_mul_f64 v[12:13], v[60:61], s[8:9]
	v_mul_f64 v[14:15], v[52:53], s[8:9]
	;; [unrolled: 1-line block ×3, first 2 shown]
	v_add_f64 v[58:59], v[206:207], v[58:59]
	s_delay_alu instid0(VALU_DEP_4) | instskip(NEXT) | instid1(VALU_DEP_4)
	v_add_f64 v[12:13], v[188:189], v[12:13]
	v_add_f64 v[14:15], v[14:15], -v[134:135]
	s_delay_alu instid0(VALU_DEP_4) | instskip(NEXT) | instid1(VALU_DEP_3)
	v_add_f64 v[44:45], v[190:191], v[44:45]
	v_add_f64 v[12:13], v[12:13], v[36:37]
	s_delay_alu instid0(VALU_DEP_3) | instskip(SKIP_2) | instid1(VALU_DEP_4)
	v_add_f64 v[14:15], v[14:15], v[38:39]
	v_mul_f64 v[36:37], v[100:101], s[0:1]
	v_mul_f64 v[38:39], v[118:119], s[16:17]
	v_add_f64 v[12:13], v[44:45], v[12:13]
	s_delay_alu instid0(VALU_DEP_4) | instskip(NEXT) | instid1(VALU_DEP_4)
	v_add_f64 v[14:15], v[46:47], v[14:15]
	v_add_f64 v[36:37], v[36:37], -v[186:187]
	v_mul_f64 v[44:45], v[110:111], s[16:17]
	v_add_f64 v[38:39], v[204:205], v[38:39]
	v_mul_f64 v[46:47], v[64:65], s[0:1]
	v_add_f64 v[12:13], v[50:51], v[12:13]
	v_add_f64 v[14:15], v[54:55], v[14:15]
	v_mul_f64 v[50:51], v[114:115], s[18:19]
	v_add_f64 v[44:45], v[44:45], -v[180:181]
	v_add_f64 v[46:47], v[46:47], -v[198:199]
	v_add_f64 v[12:13], v[58:59], v[12:13]
	v_add_f64 v[36:37], v[36:37], v[14:15]
	;; [unrolled: 1-line block ×3, first 2 shown]
	s_delay_alu instid0(VALU_DEP_3) | instskip(NEXT) | instid1(VALU_DEP_3)
	v_add_f64 v[14:15], v[38:39], v[12:13]
	v_add_f64 v[12:13], v[44:45], v[36:37]
	;; [unrolled: 1-line block ×4, first 2 shown]
	v_mul_f64 v[8:9], v[60:61], s[14:15]
	v_mul_f64 v[10:11], v[52:53], s[14:15]
	;; [unrolled: 1-line block ×5, first 2 shown]
	v_add_f64 v[8:9], v[202:203], v[8:9]
	v_add_f64 v[10:11], v[10:11], -v[176:177]
	v_add_f64 v[40:41], v[208:209], v[40:41]
	v_add_f64 v[42:43], v[42:43], -v[192:193]
	v_add_f64 v[44:45], v[212:213], v[44:45]
	v_add_f64 v[8:9], v[8:9], v[32:33]
	;; [unrolled: 1-line block ×3, first 2 shown]
	v_mul_f64 v[32:33], v[100:101], s[18:19]
	v_mul_f64 v[34:35], v[118:119], s[12:13]
	s_delay_alu instid0(VALU_DEP_4) | instskip(NEXT) | instid1(VALU_DEP_4)
	v_add_f64 v[8:9], v[40:41], v[8:9]
	v_add_f64 v[10:11], v[42:43], v[10:11]
	s_delay_alu instid0(VALU_DEP_4)
	v_add_f64 v[32:33], v[32:33], -v[200:201]
	v_mul_f64 v[40:41], v[110:111], s[12:13]
	v_add_f64 v[34:35], v[214:215], v[34:35]
	scratch_load_b64 v[42:43], off, off offset:444 ; 8-byte Folded Reload
	v_add_f64 v[8:9], v[44:45], v[8:9]
	v_add_f64 v[10:11], v[46:47], v[10:11]
	scratch_load_b64 v[46:47], off, off offset:476 ; 8-byte Folded Reload
	v_add_f64 v[40:41], v[40:41], -v[194:195]
	scratch_load_b64 v[44:45], off, off offset:396 ; 8-byte Folded Reload
	v_add_f64 v[8:9], v[50:51], v[8:9]
	v_add_f64 v[32:33], v[32:33], v[10:11]
	s_delay_alu instid0(VALU_DEP_2) | instskip(NEXT) | instid1(VALU_DEP_2)
	v_add_f64 v[10:11], v[34:35], v[8:9]
	v_add_f64 v[8:9], v[40:41], v[32:33]
	;; [unrolled: 1-line block ×3, first 2 shown]
	s_clause 0x2
	scratch_load_b64 v[6:7], off, off offset:380
	scratch_load_b64 v[36:37], off, off offset:348
	;; [unrolled: 1-line block ×3, first 2 shown]
	v_add_f64 v[34:35], v[38:39], v[4:5]
	scratch_load_b64 v[38:39], off, off offset:412 ; 8-byte Folded Reload
	v_mul_f64 v[4:5], v[60:61], s[16:17]
	v_add_f64 v[2:3], v[32:33], v[2:3]
	v_mul_u32_u24_e32 v32, 13, v252
	v_add_f64 v[0:1], v[34:35], v[0:1]
	s_delay_alu instid0(VALU_DEP_2) | instskip(SKIP_3) | instid1(VALU_DEP_2)
	v_lshlrev_b32_e32 v32, 4, v32
	s_waitcnt vmcnt(3)
	v_add_f64 v[4:5], v[6:7], v[4:5]
	v_mul_f64 v[6:7], v[52:53], s[16:17]
	v_add_f64 v[4:5], v[4:5], v[48:49]
	scratch_load_b64 v[48:49], off, off offset:428 ; 8-byte Folded Reload
	s_waitcnt vmcnt(3)
	v_add_f64 v[6:7], v[6:7], -v[36:37]
	v_mul_f64 v[36:37], v[68:69], s[14:15]
	s_delay_alu instid0(VALU_DEP_2) | instskip(SKIP_1) | instid1(VALU_DEP_2)
	v_add_f64 v[6:7], v[6:7], v[74:75]
	s_waitcnt vmcnt(1)
	v_add_f64 v[36:37], v[38:39], v[36:37]
	v_mul_f64 v[38:39], v[56:57], s[14:15]
	s_delay_alu instid0(VALU_DEP_2) | instskip(NEXT) | instid1(VALU_DEP_2)
	v_add_f64 v[4:5], v[36:37], v[4:5]
	v_add_f64 v[38:39], v[38:39], -v[40:41]
	v_mul_f64 v[40:41], v[106:107], s[12:13]
	v_mul_f64 v[36:37], v[118:119], s[0:1]
	s_delay_alu instid0(VALU_DEP_3) | instskip(NEXT) | instid1(VALU_DEP_3)
	v_add_f64 v[6:7], v[38:39], v[6:7]
	v_add_f64 v[40:41], v[42:43], v[40:41]
	scratch_load_b64 v[38:39], off, off offset:492 ; 8-byte Folded Reload
	v_mul_f64 v[42:43], v[64:65], s[12:13]
	v_add_f64 v[4:5], v[40:41], v[4:5]
	scratch_load_b64 v[40:41], off, off offset:460 ; 8-byte Folded Reload
	v_add_f64 v[42:43], v[42:43], -v[44:45]
	v_mul_f64 v[44:45], v[114:115], s[8:9]
	s_delay_alu instid0(VALU_DEP_2) | instskip(NEXT) | instid1(VALU_DEP_2)
	v_add_f64 v[6:7], v[42:43], v[6:7]
	v_add_f64 v[44:45], v[46:47], v[44:45]
	v_mul_f64 v[46:47], v[100:101], s[8:9]
	s_delay_alu instid0(VALU_DEP_2) | instskip(SKIP_1) | instid1(VALU_DEP_2)
	v_add_f64 v[4:5], v[44:45], v[4:5]
	s_waitcnt vmcnt(2)
	v_add_f64 v[46:47], v[46:47], -v[48:49]
	s_waitcnt vmcnt(1)
	v_add_f64 v[36:37], v[38:39], v[36:37]
	v_mul_f64 v[38:39], v[110:111], s[0:1]
	s_waitcnt vmcnt(0)
	s_delay_alu instid0(VALU_DEP_1) | instskip(NEXT) | instid1(VALU_DEP_4)
	v_add_f64 v[38:39], v[38:39], -v[40:41]
	v_add_f64 v[40:41], v[46:47], v[6:7]
	s_delay_alu instid0(VALU_DEP_4)
	v_add_f64 v[6:7], v[36:37], v[4:5]
	scratch_load_b128 v[33:36], off, off offset:68 ; 16-byte Folded Reload
	v_add_f64 v[4:5], v[38:39], v[40:41]
	s_waitcnt vmcnt(0)
	ds_store_b128 v32, v[33:36] offset:128
	scratch_load_b128 v[33:36], off, off offset:52 ; 16-byte Folded Reload
	s_waitcnt vmcnt(0)
	ds_store_b128 v32, v[33:36] offset:144
	scratch_load_b128 v[33:36], off, off offset:36 ; 16-byte Folded Reload
	;; [unrolled: 3-line block ×3, first 2 shown]
	s_waitcnt vmcnt(0)
	ds_store_b128 v32, v[33:36] offset:176
	ds_store_b128 v32, v[24:27] offset:32
	;; [unrolled: 1-line block ×8, first 2 shown]
	ds_store_b128 v32, v[0:3]
	scratch_load_b128 v[0:3], off, off offset:4 ; 16-byte Folded Reload
	s_waitcnt vmcnt(0)
	ds_store_b128 v32, v[0:3] offset:192
.LBB0_7:
	s_or_b32 exec_lo, exec_lo, s33
	scratch_load_b32 v134, off, off         ; 4-byte Folded Reload
	s_waitcnt vmcnt(0) lgkmcnt(0)
	s_waitcnt_vscnt null, 0x0
	s_barrier
	buffer_gl0_inv
	s_mov_b32 s14, 0xaaaaaaaa
	s_mov_b32 s15, 0xbff2aaaa
	;; [unrolled: 1-line block ×20, first 2 shown]
	v_and_b32_e32 v0, 0xff, v134
	v_add_co_u32 v208, null, 0xb6, v134
	s_delay_alu instid0(VALU_DEP_2) | instskip(NEXT) | instid1(VALU_DEP_2)
	v_mul_lo_u16 v0, 0x4f, v0
	v_and_b32_e32 v78, 0xffff, v208
	s_delay_alu instid0(VALU_DEP_2) | instskip(NEXT) | instid1(VALU_DEP_1)
	v_lshrrev_b16 v79, 10, v0
	v_mul_lo_u16 v0, v79, 13
	v_and_b32_e32 v79, 0xffff, v79
	s_delay_alu instid0(VALU_DEP_2) | instskip(NEXT) | instid1(VALU_DEP_2)
	v_sub_nc_u16 v0, v134, v0
	v_mul_u32_u24_e32 v79, 0x5b, v79
	s_delay_alu instid0(VALU_DEP_2) | instskip(NEXT) | instid1(VALU_DEP_1)
	v_and_b32_e32 v90, 0xff, v0
	v_mul_u32_u24_e32 v0, 6, v90
	s_delay_alu instid0(VALU_DEP_3) | instskip(NEXT) | instid1(VALU_DEP_2)
	v_add_lshl_u32 v103, v79, v90, 4
	v_lshlrev_b32_e32 v28, 4, v0
	v_and_b32_e32 v0, 0xff, v252
	s_clause 0x2
	global_load_b128 v[34:37], v28, s[2:3]
	global_load_b128 v[44:47], v28, s[2:3] offset:16
	global_load_b128 v[30:33], v28, s[2:3] offset:80
	v_mul_lo_u16 v0, 0x4f, v0
	global_load_b128 v[60:63], v28, s[2:3] offset:64
	v_lshrrev_b16 v76, 10, v0
	s_delay_alu instid0(VALU_DEP_1) | instskip(NEXT) | instid1(VALU_DEP_1)
	v_mul_lo_u16 v0, v76, 13
	v_sub_nc_u16 v0, v252, v0
	s_delay_alu instid0(VALU_DEP_1) | instskip(NEXT) | instid1(VALU_DEP_1)
	v_and_b32_e32 v77, 0xff, v0
	v_mul_u32_u24_e32 v0, 6, v77
	s_delay_alu instid0(VALU_DEP_1)
	v_lshlrev_b32_e32 v29, 4, v0
	s_clause 0x1
	global_load_b128 v[52:55], v29, s[2:3]
	global_load_b128 v[40:43], v29, s[2:3] offset:16
	ds_load_b128 v[0:3], v138 offset:4368
	ds_load_b128 v[4:7], v138 offset:8736
	;; [unrolled: 1-line block ×4, first 2 shown]
	s_waitcnt vmcnt(5) lgkmcnt(3)
	v_mul_f64 v[16:17], v[2:3], v[36:37]
	v_mul_f64 v[18:19], v[0:1], v[36:37]
	s_waitcnt vmcnt(4) lgkmcnt(2)
	v_mul_f64 v[20:21], v[6:7], v[46:47]
	v_mul_f64 v[22:23], v[4:5], v[46:47]
	s_clause 0x1
	scratch_store_b128 off, v[34:37], off offset:428
	scratch_store_b128 off, v[44:47], off offset:412
	s_waitcnt vmcnt(3) lgkmcnt(1)
	v_mul_f64 v[24:25], v[10:11], v[32:33]
	scratch_store_b128 off, v[30:33], off offset:348 ; 16-byte Folded Spill
	s_waitcnt vmcnt(2)
	scratch_store_b128 off, v[60:63], off offset:396 ; 16-byte Folded Spill
	s_waitcnt vmcnt(1)
	scratch_store_b128 off, v[52:55], off offset:380 ; 16-byte Folded Spill
	v_fma_f64 v[38:39], v[0:1], v[34:35], -v[16:17]
	v_mul_f64 v[0:1], v[8:9], v[32:33]
	v_fma_f64 v[36:37], v[2:3], v[34:35], v[18:19]
	v_fma_f64 v[48:49], v[4:5], v[44:45], -v[20:21]
	v_fma_f64 v[44:45], v[6:7], v[44:45], v[22:23]
	s_waitcnt vmcnt(0)
	scratch_store_b128 off, v[40:43], off offset:364 ; 16-byte Folded Spill
	v_fma_f64 v[50:51], v[8:9], v[30:31], -v[24:25]
	v_fma_f64 v[46:47], v[10:11], v[30:31], v[0:1]
	ds_load_b128 v[0:3], v138 offset:5824
	s_waitcnt lgkmcnt(1)
	v_mul_f64 v[4:5], v[12:13], v[62:63]
	v_mul_f64 v[16:17], v[14:15], v[62:63]
	v_add_f64 v[150:151], v[38:39], v[50:51]
	s_waitcnt lgkmcnt(0)
	v_mul_f64 v[6:7], v[2:3], v[54:55]
	v_add_f64 v[82:83], v[36:37], v[46:47]
	v_add_f64 v[46:47], v[36:37], -v[46:47]
	v_fma_f64 v[56:57], v[14:15], v[60:61], v[4:5]
	v_mul_f64 v[4:5], v[0:1], v[54:55]
	v_fma_f64 v[58:59], v[12:13], v[60:61], -v[16:17]
	v_fma_f64 v[14:15], v[0:1], v[52:53], -v[6:7]
	global_load_b128 v[6:9], v29, s[2:3] offset:80
	v_add_f64 v[184:185], v[44:45], v[56:57]
	v_fma_f64 v[12:13], v[2:3], v[52:53], v[4:5]
	ds_load_b128 v[0:3], v138 offset:10192
	v_add_f64 v[152:153], v[48:49], v[58:59]
	s_waitcnt lgkmcnt(0)
	v_mul_f64 v[4:5], v[2:3], v[42:43]
	s_delay_alu instid0(VALU_DEP_1) | instskip(SKIP_1) | instid1(VALU_DEP_1)
	v_fma_f64 v[16:17], v[0:1], v[40:41], -v[4:5]
	v_mul_f64 v[0:1], v[0:1], v[42:43]
	v_fma_f64 v[18:19], v[2:3], v[40:41], v[0:1]
	ds_load_b128 v[0:3], v138 offset:27664
	s_waitcnt vmcnt(0) lgkmcnt(0)
	v_mul_f64 v[4:5], v[2:3], v[8:9]
	scratch_store_b128 off, v[6:9], off offset:444 ; 16-byte Folded Spill
	v_fma_f64 v[20:21], v[0:1], v[6:7], -v[4:5]
	v_mul_f64 v[0:1], v[0:1], v[8:9]
	s_delay_alu instid0(VALU_DEP_2) | instskip(NEXT) | instid1(VALU_DEP_2)
	v_add_f64 v[172:173], v[14:15], v[20:21]
	v_fma_f64 v[22:23], v[2:3], v[6:7], v[0:1]
	global_load_b128 v[6:9], v29, s[2:3] offset:64
	ds_load_b128 v[0:3], v138 offset:23296
	v_add_f64 v[20:21], v[14:15], -v[20:21]
	v_add_f64 v[176:177], v[12:13], v[22:23]
	v_add_f64 v[22:23], v[12:13], -v[22:23]
	s_waitcnt vmcnt(0) lgkmcnt(0)
	v_mul_f64 v[4:5], v[2:3], v[8:9]
	scratch_store_b128 off, v[6:9], off offset:460 ; 16-byte Folded Spill
	v_fma_f64 v[24:25], v[0:1], v[6:7], -v[4:5]
	v_mul_f64 v[0:1], v[0:1], v[8:9]
	s_delay_alu instid0(VALU_DEP_2) | instskip(NEXT) | instid1(VALU_DEP_2)
	v_add_f64 v[86:87], v[16:17], v[24:25]
	v_fma_f64 v[26:27], v[2:3], v[6:7], v[0:1]
	global_load_b128 v[6:9], v28, s[2:3] offset:32
	ds_load_b128 v[0:3], v138 offset:13104
	v_add_f64 v[16:17], v[16:17], -v[24:25]
	v_add_f64 v[182:183], v[18:19], v[26:27]
	v_add_f64 v[18:19], v[18:19], -v[26:27]
	s_waitcnt vmcnt(0) lgkmcnt(0)
	v_mul_f64 v[4:5], v[2:3], v[8:9]
	scratch_store_b128 off, v[6:9], off offset:508 ; 16-byte Folded Spill
	v_fma_f64 v[74:75], v[0:1], v[6:7], -v[4:5]
	v_mul_f64 v[0:1], v[0:1], v[8:9]
	s_delay_alu instid0(VALU_DEP_1)
	v_fma_f64 v[72:73], v[2:3], v[6:7], v[0:1]
	global_load_b128 v[6:9], v28, s[2:3] offset:48
	ds_load_b128 v[0:3], v138 offset:17472
	s_waitcnt vmcnt(0) lgkmcnt(0)
	v_mul_f64 v[4:5], v[2:3], v[8:9]
	scratch_store_b128 off, v[6:9], off offset:492 ; 16-byte Folded Spill
	v_fma_f64 v[148:149], v[0:1], v[6:7], -v[4:5]
	v_mul_f64 v[0:1], v[0:1], v[8:9]
	s_delay_alu instid0(VALU_DEP_2) | instskip(NEXT) | instid1(VALU_DEP_2)
	v_add_f64 v[154:155], v[74:75], v[148:149]
	v_fma_f64 v[146:147], v[2:3], v[6:7], v[0:1]
	global_load_b128 v[6:9], v29, s[2:3] offset:32
	ds_load_b128 v[0:3], v138 offset:14560
	v_add_f64 v[84:85], v[72:73], v[146:147]
	s_waitcnt vmcnt(0) lgkmcnt(0)
	v_mul_f64 v[4:5], v[2:3], v[8:9]
	scratch_store_b128 off, v[6:9], off offset:476 ; 16-byte Folded Spill
	v_fma_f64 v[66:67], v[0:1], v[6:7], -v[4:5]
	v_mul_f64 v[0:1], v[0:1], v[8:9]
	s_delay_alu instid0(VALU_DEP_1)
	v_fma_f64 v[64:65], v[2:3], v[6:7], v[0:1]
	global_load_b128 v[6:9], v29, s[2:3] offset:48
	ds_load_b128 v[0:3], v138 offset:18928
	s_waitcnt vmcnt(0) lgkmcnt(0)
	v_mul_f64 v[4:5], v[2:3], v[8:9]
	scratch_store_b128 off, v[6:9], off offset:572 ; 16-byte Folded Spill
	v_fma_f64 v[144:145], v[0:1], v[6:7], -v[4:5]
	v_mul_f64 v[0:1], v[0:1], v[8:9]
	s_delay_alu instid0(VALU_DEP_2) | instskip(NEXT) | instid1(VALU_DEP_2)
	v_add_f64 v[174:175], v[66:67], v[144:145]
	v_fma_f64 v[106:107], v[2:3], v[6:7], v[0:1]
	v_mul_u32_u24_e32 v0, 0x4ec5, v78
	v_add_f64 v[24:25], v[144:145], -v[66:67]
	s_delay_alu instid0(VALU_DEP_2) | instskip(NEXT) | instid1(VALU_DEP_1)
	v_lshrrev_b32_e32 v91, 18, v0
	v_mul_lo_u16 v0, v91, 13
	s_delay_alu instid0(VALU_DEP_1) | instskip(NEXT) | instid1(VALU_DEP_1)
	v_sub_nc_u16 v92, v208, v0
	v_mul_lo_u16 v0, v92, 6
	s_delay_alu instid0(VALU_DEP_1) | instskip(NEXT) | instid1(VALU_DEP_1)
	v_and_b32_e32 v0, 0xffff, v0
	v_lshlrev_b32_e32 v6, 4, v0
	ds_load_b128 v[0:3], v138 offset:7280
	global_load_b128 v[7:10], v6, s[2:3]
	v_add_f64 v[66:67], v[174:175], -v[86:87]
	v_add_f64 v[178:179], v[64:65], v[106:107]
	v_add_f64 v[26:27], v[106:107], -v[64:65]
	v_add_f64 v[14:15], v[24:25], -v[16:17]
	;; [unrolled: 1-line block ×3, first 2 shown]
	v_add_f64 v[12:13], v[24:25], v[16:17]
	s_waitcnt vmcnt(0) lgkmcnt(0)
	v_mul_f64 v[4:5], v[2:3], v[9:10]
	scratch_store_b128 off, v[7:10], off offset:556 ; 16-byte Folded Spill
	v_fma_f64 v[30:31], v[0:1], v[7:8], -v[4:5]
	v_mul_f64 v[0:1], v[0:1], v[9:10]
	s_delay_alu instid0(VALU_DEP_1)
	v_fma_f64 v[28:29], v[2:3], v[7:8], v[0:1]
	global_load_b128 v[7:10], v6, s[2:3] offset:16
	ds_load_b128 v[0:3], v138 offset:11648
	s_waitcnt vmcnt(0) lgkmcnt(0)
	v_mul_f64 v[4:5], v[2:3], v[9:10]
	scratch_store_b128 off, v[7:10], off offset:588 ; 16-byte Folded Spill
	v_fma_f64 v[34:35], v[0:1], v[7:8], -v[4:5]
	v_mul_f64 v[0:1], v[0:1], v[9:10]
	s_delay_alu instid0(VALU_DEP_1)
	v_fma_f64 v[32:33], v[2:3], v[7:8], v[0:1]
	global_load_b128 v[7:10], v6, s[2:3] offset:80
	ds_load_b128 v[0:3], v138 offset:29120
	s_waitcnt vmcnt(0) lgkmcnt(0)
	v_mul_f64 v[4:5], v[2:3], v[9:10]
	scratch_store_b128 off, v[7:10], off offset:524 ; 16-byte Folded Spill
	v_fma_f64 v[42:43], v[0:1], v[7:8], -v[4:5]
	v_mul_f64 v[0:1], v[0:1], v[9:10]
	s_delay_alu instid0(VALU_DEP_2) | instskip(NEXT) | instid1(VALU_DEP_2)
	v_add_f64 v[156:157], v[30:31], v[42:43]
	v_fma_f64 v[40:41], v[2:3], v[7:8], v[0:1]
	global_load_b128 v[7:10], v6, s[2:3] offset:64
	ds_load_b128 v[0:3], v138 offset:24752
	v_add_f64 v[42:43], v[30:31], -v[42:43]
	v_add_f64 v[160:161], v[28:29], v[40:41]
	v_add_f64 v[40:41], v[28:29], -v[40:41]
	s_waitcnt vmcnt(0) lgkmcnt(0)
	v_mul_f64 v[4:5], v[2:3], v[9:10]
	scratch_store_b128 off, v[7:10], off offset:540 ; 16-byte Folded Spill
	v_fma_f64 v[54:55], v[0:1], v[7:8], -v[4:5]
	v_mul_f64 v[0:1], v[0:1], v[9:10]
	s_delay_alu instid0(VALU_DEP_2) | instskip(NEXT) | instid1(VALU_DEP_2)
	v_add_f64 v[168:169], v[34:35], v[54:55]
	v_fma_f64 v[52:53], v[2:3], v[7:8], v[0:1]
	global_load_b128 v[7:10], v6, s[2:3] offset:32
	ds_load_b128 v[0:3], v138 offset:16016
	v_add_f64 v[34:35], v[34:35], -v[54:55]
	v_add_f64 v[170:171], v[32:33], v[52:53]
	v_add_f64 v[30:31], v[32:33], -v[52:53]
	s_waitcnt vmcnt(0) lgkmcnt(0)
	v_mul_f64 v[4:5], v[2:3], v[9:10]
	scratch_store_b128 off, v[7:10], off offset:604 ; 16-byte Folded Spill
	v_fma_f64 v[62:63], v[0:1], v[7:8], -v[4:5]
	v_mul_f64 v[0:1], v[0:1], v[9:10]
	s_delay_alu instid0(VALU_DEP_1)
	v_fma_f64 v[60:61], v[2:3], v[7:8], v[0:1]
	global_load_b128 v[6:9], v6, s[2:3] offset:48
	ds_load_b128 v[0:3], v138 offset:20384
	s_waitcnt vmcnt(0) lgkmcnt(0)
	v_mul_f64 v[4:5], v[2:3], v[8:9]
	scratch_store_b128 off, v[6:9], off offset:620 ; 16-byte Folded Spill
	v_fma_f64 v[70:71], v[0:1], v[6:7], -v[4:5]
	v_mul_f64 v[0:1], v[0:1], v[8:9]
	v_add_f64 v[4:5], v[168:169], v[156:157]
	s_delay_alu instid0(VALU_DEP_3) | instskip(NEXT) | instid1(VALU_DEP_3)
	v_add_f64 v[158:159], v[62:63], v[70:71]
	v_fma_f64 v[68:69], v[2:3], v[6:7], v[0:1]
	v_add_f64 v[0:1], v[152:153], v[150:151]
	v_add_f64 v[54:55], v[70:71], -v[62:63]
	s_delay_alu instid0(VALU_DEP_4) | instskip(NEXT) | instid1(VALU_DEP_4)
	v_add_f64 v[164:165], v[158:159], v[4:5]
	v_add_f64 v[162:163], v[60:61], v[68:69]
	s_delay_alu instid0(VALU_DEP_4)
	v_add_f64 v[186:187], v[154:155], v[0:1]
	v_add_f64 v[0:1], v[184:185], v[82:83]
	;; [unrolled: 1-line block ×3, first 2 shown]
	v_add_f64 v[52:53], v[68:69], -v[60:61]
	v_add_f64 v[32:33], v[54:55], -v[34:35]
	v_add_f64 v[62:63], v[158:159], -v[168:169]
	v_add_f64 v[28:29], v[54:55], v[34:35]
	v_add_f64 v[60:61], v[168:169], -v[156:157]
	v_add_f64 v[68:69], v[170:171], -v[160:161]
	v_add_f64 v[70:71], v[162:163], -v[170:171]
	v_add_f64 v[88:89], v[84:85], v[0:1]
	ds_load_b128 v[0:3], v138
	v_add_f64 v[166:167], v[162:163], v[4:5]
	ds_load_b128 v[4:7], v138 offset:2912
	s_waitcnt lgkmcnt(1)
	v_add_f64 v[8:9], v[0:1], v[186:187]
	v_add_f64 v[0:1], v[86:87], v[172:173]
	v_add_f64 v[86:87], v[16:17], -v[20:21]
	v_add_f64 v[16:17], v[26:27], -v[18:19]
	s_waitcnt lgkmcnt(0)
	v_add_f64 v[4:5], v[4:5], v[164:165]
	v_add_f64 v[10:11], v[2:3], v[88:89]
	;; [unrolled: 1-line block ×3, first 2 shown]
	v_fma_f64 v[93:94], v[186:187], s[14:15], v[8:9]
	v_add_f64 v[180:181], v[174:175], v[0:1]
	v_add_f64 v[0:1], v[182:183], v[176:177]
	v_fma_f64 v[88:89], v[88:89], s[14:15], v[10:11]
	s_delay_alu instid0(VALU_DEP_2)
	v_add_f64 v[80:81], v[178:179], v[0:1]
	ds_load_b128 v[0:3], v138 offset:1456
	s_waitcnt lgkmcnt(0)
	s_waitcnt_vscnt null, 0x0
	s_barrier
	buffer_gl0_inv
	ds_store_b128 v103, v[8:11]
	v_add_f64 v[8:9], v[48:49], -v[58:59]
	v_add_f64 v[48:49], v[148:149], -v[74:75]
	;; [unrolled: 1-line block ×10, first 2 shown]
	v_add_f64 v[0:1], v[0:1], v[180:181]
	v_add_f64 v[2:3], v[2:3], v[80:81]
	v_add_f64 v[38:39], v[48:49], -v[8:9]
	v_add_f64 v[36:37], v[48:49], v[8:9]
	v_add_f64 v[95:96], v[8:9], -v[44:45]
	v_add_f64 v[8:9], v[50:51], -v[10:11]
	v_add_f64 v[97:98], v[50:51], v[10:11]
	v_add_f64 v[99:100], v[10:11], -v[46:47]
	v_mul_f64 v[10:11], v[74:75], s[0:1]
	v_add_f64 v[84:85], v[44:45], -v[48:49]
	v_mul_f64 v[82:83], v[82:83], s[22:23]
	v_fma_f64 v[79:80], v[80:81], s[14:15], v[2:3]
	v_mul_f64 v[101:102], v[38:39], s[18:19]
	v_add_f64 v[110:111], v[36:37], v[44:45]
	v_mul_f64 v[44:45], v[95:96], s[12:13]
	v_mul_f64 v[108:109], v[8:9], s[18:19]
	;; [unrolled: 1-line block ×3, first 2 shown]
	v_add_f64 v[97:98], v[97:98], v[46:47]
	v_fma_f64 v[10:11], v[72:73], s[16:17], -v[10:11]
	v_fma_f64 v[74:75], v[74:75], s[0:1], v[82:83]
	v_fma_f64 v[36:37], v[95:96], s[12:13], -v[101:102]
	v_fma_f64 v[44:45], v[84:85], s[26:27], -v[44:45]
	;; [unrolled: 1-line block ×3, first 2 shown]
	v_add_f64 v[114:115], v[10:11], v[88:89]
	v_add_f64 v[74:75], v[74:75], v[88:89]
	v_fma_f64 v[38:39], v[110:111], s[8:9], v[36:37]
	v_fma_f64 v[36:37], v[99:100], s[12:13], -v[108:109]
	v_add_f64 v[112:113], v[8:9], v[93:94]
	s_delay_alu instid0(VALU_DEP_3) | instskip(NEXT) | instid1(VALU_DEP_3)
	v_add_f64 v[10:11], v[38:39], v[114:115]
	v_fma_f64 v[36:37], v[97:98], s[8:9], v[36:37]
	v_add_f64 v[38:39], v[114:115], -v[38:39]
	v_add_f64 v[114:115], v[46:47], -v[50:51]
	v_mul_f64 v[46:47], v[99:100], s[12:13]
	v_fma_f64 v[50:51], v[72:73], s[24:25], -v[82:83]
	v_mul_f64 v[99:100], v[16:17], s[18:19]
	v_add_f64 v[8:9], v[112:113], -v[36:37]
	v_add_f64 v[36:37], v[36:37], v[112:113]
	v_add_f64 v[112:113], v[150:151], -v[154:155]
	v_fma_f64 v[46:47], v[114:115], s[26:27], -v[46:47]
	v_add_f64 v[50:51], v[50:51], v[88:89]
	v_add_f64 v[88:89], v[26:27], v[18:19]
	s_delay_alu instid0(VALU_DEP_4) | instskip(NEXT) | instid1(VALU_DEP_4)
	v_mul_f64 v[95:96], v[112:113], s[22:23]
	v_fma_f64 v[72:73], v[97:98], s[8:9], v[46:47]
	v_add_f64 v[112:113], v[22:23], -v[26:27]
	s_delay_alu instid0(VALU_DEP_4) | instskip(NEXT) | instid1(VALU_DEP_4)
	v_add_f64 v[88:89], v[88:89], v[22:23]
	v_fma_f64 v[48:49], v[56:57], s[24:25], -v[95:96]
	v_fma_f64 v[56:57], v[110:111], s[8:9], v[44:45]
	v_fma_f64 v[58:59], v[58:59], s[0:1], v[95:96]
	v_add_f64 v[95:96], v[12:13], v[20:21]
	v_mul_f64 v[12:13], v[66:67], s[0:1]
	v_add_f64 v[48:49], v[48:49], v[93:94]
	v_add_f64 v[46:47], v[50:51], -v[56:57]
	v_add_f64 v[50:51], v[56:57], v[50:51]
	v_fma_f64 v[56:57], v[84:85], s[20:21], v[101:102]
	v_add_f64 v[84:85], v[58:59], v[93:94]
	v_add_f64 v[93:94], v[18:19], -v[22:23]
	v_fma_f64 v[12:13], v[64:65], s[16:17], -v[12:13]
	v_fma_f64 v[101:102], v[180:181], s[14:15], v[0:1]
	v_add_f64 v[44:45], v[72:73], v[48:49]
	v_add_f64 v[48:49], v[48:49], -v[72:73]
	v_fma_f64 v[72:73], v[114:115], s[20:21], v[108:109]
	v_fma_f64 v[82:83], v[110:111], s[8:9], v[56:57]
	v_add_f64 v[110:111], v[20:21], -v[24:25]
	v_mul_f64 v[20:21], v[86:87], s[12:13]
	v_mul_f64 v[22:23], v[93:94], s[12:13]
	v_add_f64 v[106:107], v[12:13], v[101:102]
	v_fma_f64 v[72:73], v[97:98], s[8:9], v[72:73]
	v_mul_f64 v[97:98], v[14:15], s[18:19]
	v_add_f64 v[58:59], v[74:75], -v[82:83]
	v_add_f64 v[74:75], v[82:83], v[74:75]
	v_add_f64 v[82:83], v[182:183], -v[176:177]
	v_fma_f64 v[20:21], v[110:111], s[26:27], -v[20:21]
	v_fma_f64 v[22:23], v[112:113], s[26:27], -v[22:23]
	v_add_f64 v[56:57], v[72:73], v[84:85]
	v_add_f64 v[72:73], v[84:85], -v[72:73]
	v_add_f64 v[84:85], v[178:179], -v[182:183]
	v_fma_f64 v[16:17], v[86:87], s[12:13], -v[97:98]
	ds_store_b128 v103, v[56:59] offset:208
	ds_store_b128 v103, v[44:47] offset:416
	;; [unrolled: 1-line block ×5, first 2 shown]
	v_and_b32_e32 v8, 0xffff, v76
	v_mul_f64 v[14:15], v[84:85], s[0:1]
	v_fma_f64 v[18:19], v[95:96], s[8:9], v[16:17]
	v_fma_f64 v[16:17], v[93:94], s[12:13], -v[99:100]
	scratch_store_b32 off, v103, off offset:732 ; 4-byte Folded Spill
	v_mul_u32_u24_e32 v8, 0x5b, v8
	ds_store_b128 v103, v[72:75] offset:1248
	v_add_lshl_u32 v8, v8, v77, 4
	v_fma_f64 v[14:15], v[82:83], s[16:17], -v[14:15]
	v_fma_f64 v[16:17], v[88:89], s[8:9], v[16:17]
	s_delay_alu instid0(VALU_DEP_2) | instskip(NEXT) | instid1(VALU_DEP_2)
	v_add_f64 v[108:109], v[14:15], v[79:80]
	v_add_f64 v[12:13], v[106:107], -v[16:17]
	v_add_f64 v[16:17], v[16:17], v[106:107]
	v_add_f64 v[106:107], v[172:173], -v[174:175]
	s_delay_alu instid0(VALU_DEP_4) | instskip(SKIP_2) | instid1(VALU_DEP_4)
	v_add_f64 v[14:15], v[18:19], v[108:109]
	v_add_f64 v[18:19], v[108:109], -v[18:19]
	v_add_f64 v[108:109], v[176:177], -v[178:179]
	v_mul_f64 v[86:87], v[106:107], s[22:23]
	s_delay_alu instid0(VALU_DEP_2) | instskip(SKIP_1) | instid1(VALU_DEP_3)
	v_mul_f64 v[93:94], v[108:109], s[22:23]
	v_add_f64 v[108:109], v[42:43], -v[54:55]
	v_fma_f64 v[24:25], v[64:65], s[24:25], -v[86:87]
	v_fma_f64 v[64:65], v[95:96], s[8:9], v[20:21]
	v_fma_f64 v[66:67], v[66:67], s[0:1], v[86:87]
	v_fma_f64 v[26:27], v[82:83], s[24:25], -v[93:94]
	v_fma_f64 v[81:82], v[88:89], s[8:9], v[22:23]
	v_add_f64 v[24:25], v[24:25], v[101:102]
	v_fma_f64 v[83:84], v[84:85], s[0:1], v[93:94]
	s_delay_alu instid0(VALU_DEP_4) | instskip(NEXT) | instid1(VALU_DEP_3)
	v_add_f64 v[26:27], v[26:27], v[79:80]
	v_add_f64 v[20:21], v[81:82], v[24:25]
	v_add_f64 v[24:25], v[24:25], -v[81:82]
	v_fma_f64 v[81:82], v[112:113], s[20:21], v[99:100]
	v_add_f64 v[83:84], v[83:84], v[79:80]
	v_fma_f64 v[99:100], v[166:167], s[14:15], v[6:7]
	v_add_f64 v[22:23], v[26:27], -v[64:65]
	v_add_f64 v[26:27], v[64:65], v[26:27]
	v_fma_f64 v[64:65], v[110:111], s[20:21], v[97:98]
	v_fma_f64 v[97:98], v[164:165], s[14:15], v[4:5]
	;; [unrolled: 1-line block ×3, first 2 shown]
	v_add_f64 v[87:88], v[66:67], v[101:102]
	v_add_f64 v[89:90], v[28:29], v[42:43]
	v_mul_f64 v[28:29], v[62:63], s[0:1]
	v_add_f64 v[110:111], v[40:41], -v[52:53]
	v_fma_f64 v[85:86], v[95:96], s[8:9], v[64:65]
	v_mul_f64 v[95:96], v[32:33], s[18:19]
	v_add_f64 v[64:65], v[81:82], v[87:88]
	v_add_f64 v[79:80], v[87:88], -v[81:82]
	v_add_f64 v[87:88], v[30:31], -v[40:41]
	v_fma_f64 v[28:29], v[60:61], s[16:17], -v[28:29]
	v_add_f64 v[66:67], v[83:84], -v[85:86]
	v_add_f64 v[81:82], v[85:86], v[83:84]
	v_add_f64 v[83:84], v[34:35], -v[42:43]
	v_add_f64 v[85:86], v[52:53], -v[30:31]
	v_add_f64 v[34:35], v[52:53], v[30:31]
	v_mul_f64 v[30:31], v[70:71], s[0:1]
	v_add_f64 v[101:102], v[28:29], v[97:98]
	v_mul_f64 v[42:43], v[87:88], s[12:13]
	ds_store_b128 v8, v[0:3]
	ds_store_b128 v8, v[64:67] offset:208
	ds_store_b128 v8, v[20:23] offset:416
	;; [unrolled: 1-line block ×5, first 2 shown]
	v_mad_u16 v0, 0x5b, v91, v92
	scratch_store_b32 off, v8, off offset:756 ; 4-byte Folded Spill
	v_fma_f64 v[32:33], v[83:84], s[12:13], -v[95:96]
	v_mul_f64 v[85:86], v[85:86], s[18:19]
	v_add_f64 v[93:94], v[34:35], v[40:41]
	v_fma_f64 v[30:31], v[68:69], s[16:17], -v[30:31]
	v_mul_f64 v[40:41], v[83:84], s[12:13]
	v_fma_f64 v[42:43], v[110:111], s[26:27], -v[42:43]
	v_and_b32_e32 v0, 0xffff, v0
	ds_store_b128 v8, v[79:82] offset:1248
	v_lshlrev_b32_e32 v0, 4, v0
	v_fma_f64 v[34:35], v[89:90], s[8:9], v[32:33]
	v_fma_f64 v[32:33], v[87:88], s[12:13], -v[85:86]
	v_add_f64 v[106:107], v[30:31], v[99:100]
	v_fma_f64 v[40:41], v[108:109], s[26:27], -v[40:41]
	s_delay_alu instid0(VALU_DEP_3) | instskip(NEXT) | instid1(VALU_DEP_3)
	v_fma_f64 v[32:33], v[93:94], s[8:9], v[32:33]
	v_add_f64 v[30:31], v[34:35], v[106:107]
	v_add_f64 v[34:35], v[106:107], -v[34:35]
	v_add_f64 v[106:107], v[160:161], -v[162:163]
	s_delay_alu instid0(VALU_DEP_4) | instskip(SKIP_2) | instid1(VALU_DEP_4)
	v_add_f64 v[28:29], v[101:102], -v[32:33]
	v_add_f64 v[32:33], v[32:33], v[101:102]
	v_add_f64 v[101:102], v[156:157], -v[158:159]
	v_mul_f64 v[87:88], v[106:107], s[22:23]
	s_delay_alu instid0(VALU_DEP_2) | instskip(NEXT) | instid1(VALU_DEP_2)
	v_mul_f64 v[83:84], v[101:102], s[22:23]
	v_fma_f64 v[54:55], v[68:69], s[24:25], -v[87:88]
	v_fma_f64 v[68:69], v[93:94], s[8:9], v[42:43]
	v_fma_f64 v[70:71], v[70:71], s[0:1], v[87:88]
	s_delay_alu instid0(VALU_DEP_4)
	v_fma_f64 v[52:53], v[60:61], s[24:25], -v[83:84]
	v_fma_f64 v[60:61], v[89:90], s[8:9], v[40:41]
	v_add_f64 v[54:55], v[54:55], v[99:100]
	v_fma_f64 v[62:63], v[62:63], s[0:1], v[83:84]
	v_add_f64 v[70:71], v[70:71], v[99:100]
	v_add_f64 v[52:53], v[52:53], v[97:98]
	s_delay_alu instid0(VALU_DEP_4) | instskip(SKIP_2) | instid1(VALU_DEP_4)
	v_add_f64 v[42:43], v[54:55], -v[60:61]
	v_add_f64 v[54:55], v[60:61], v[54:55]
	v_fma_f64 v[60:61], v[108:109], s[20:21], v[95:96]
	v_add_f64 v[40:41], v[68:69], v[52:53]
	v_add_f64 v[52:53], v[52:53], -v[68:69]
	v_fma_f64 v[68:69], v[110:111], s[20:21], v[85:86]
	v_add_f64 v[85:86], v[62:63], v[97:98]
	v_fma_f64 v[83:84], v[89:90], s[8:9], v[60:61]
	s_delay_alu instid0(VALU_DEP_3) | instskip(NEXT) | instid1(VALU_DEP_2)
	v_fma_f64 v[68:69], v[93:94], s[8:9], v[68:69]
	v_add_f64 v[62:63], v[70:71], -v[83:84]
	v_add_f64 v[70:71], v[83:84], v[70:71]
	s_delay_alu instid0(VALU_DEP_3)
	v_add_f64 v[60:61], v[68:69], v[85:86]
	v_add_f64 v[68:69], v[85:86], -v[68:69]
	ds_store_b128 v0, v[4:7]
	ds_store_b128 v0, v[60:63] offset:208
	ds_store_b128 v0, v[40:43] offset:416
	;; [unrolled: 1-line block ×5, first 2 shown]
	v_mad_u64_u32 v[4:5], null, 0x60, v134, s[2:3]
	scratch_store_b32 off, v0, off offset:736 ; 4-byte Folded Spill
	ds_store_b128 v0, v[68:71] offset:1248
	s_waitcnt lgkmcnt(0)
	s_waitcnt_vscnt null, 0x0
	s_barrier
	buffer_gl0_inv
	ds_load_b128 v[0:3], v138 offset:4368
	s_clause 0x5
	global_load_b128 v[144:147], v[4:5], off offset:1248
	global_load_b128 v[172:175], v[4:5], off offset:1264
	;; [unrolled: 1-line block ×6, first 2 shown]
	s_waitcnt vmcnt(5) lgkmcnt(0)
	v_mul_f64 v[6:7], v[2:3], v[146:147]
	s_delay_alu instid0(VALU_DEP_1) | instskip(SKIP_1) | instid1(VALU_DEP_1)
	v_fma_f64 v[76:77], v[0:1], v[144:145], -v[6:7]
	v_mul_f64 v[0:1], v[0:1], v[146:147]
	v_fma_f64 v[106:107], v[2:3], v[144:145], v[0:1]
	ds_load_b128 v[0:3], v138 offset:8736
	s_waitcnt vmcnt(4) lgkmcnt(0)
	v_mul_f64 v[6:7], v[2:3], v[174:175]
	s_delay_alu instid0(VALU_DEP_1) | instskip(SKIP_1) | instid1(VALU_DEP_1)
	v_fma_f64 v[108:109], v[0:1], v[172:173], -v[6:7]
	v_mul_f64 v[0:1], v[0:1], v[174:175]
	v_fma_f64 v[110:111], v[2:3], v[172:173], v[0:1]
	ds_load_b128 v[0:3], v138 offset:21840
	s_waitcnt vmcnt(3) lgkmcnt(0)
	v_mul_f64 v[6:7], v[2:3], v[170:171]
	s_delay_alu instid0(VALU_DEP_1) | instskip(SKIP_1) | instid1(VALU_DEP_2)
	v_fma_f64 v[112:113], v[0:1], v[168:169], -v[6:7]
	v_mul_f64 v[0:1], v[0:1], v[170:171]
	v_add_f64 v[126:127], v[108:109], v[112:113]
	s_delay_alu instid0(VALU_DEP_2)
	v_fma_f64 v[114:115], v[2:3], v[168:169], v[0:1]
	ds_load_b128 v[0:3], v138 offset:26208
	v_add_f64 v[112:113], v[108:109], -v[112:113]
	s_waitcnt vmcnt(2) lgkmcnt(0)
	v_mul_f64 v[6:7], v[2:3], v[158:159]
	v_add_f64 v[130:131], v[110:111], v[114:115]
	v_add_f64 v[114:115], v[110:111], -v[114:115]
	s_delay_alu instid0(VALU_DEP_3) | instskip(SKIP_1) | instid1(VALU_DEP_2)
	v_fma_f64 v[116:117], v[0:1], v[156:157], -v[6:7]
	v_mul_f64 v[0:1], v[0:1], v[158:159]
	v_add_f64 v[60:61], v[76:77], v[116:117]
	s_delay_alu instid0(VALU_DEP_2)
	v_fma_f64 v[118:119], v[2:3], v[156:157], v[0:1]
	ds_load_b128 v[0:3], v138 offset:5824
	v_add_f64 v[196:197], v[76:77], -v[116:117]
	s_waitcnt lgkmcnt(0)
	v_mul_f64 v[6:7], v[2:3], v[146:147]
	v_add_f64 v[108:109], v[126:127], -v[60:61]
	v_add_f64 v[92:93], v[106:107], v[118:119]
	v_add_f64 v[200:201], v[106:107], -v[118:119]
	s_delay_alu instid0(VALU_DEP_4) | instskip(SKIP_1) | instid1(VALU_DEP_4)
	v_fma_f64 v[30:31], v[0:1], v[144:145], -v[6:7]
	v_mul_f64 v[0:1], v[0:1], v[146:147]
	v_add_f64 v[110:111], v[130:131], -v[92:93]
	s_delay_alu instid0(VALU_DEP_2) | instskip(SKIP_3) | instid1(VALU_DEP_1)
	v_fma_f64 v[28:29], v[2:3], v[144:145], v[0:1]
	ds_load_b128 v[0:3], v138 offset:10192
	s_waitcnt lgkmcnt(0)
	v_mul_f64 v[6:7], v[2:3], v[174:175]
	v_fma_f64 v[34:35], v[0:1], v[172:173], -v[6:7]
	v_mul_f64 v[0:1], v[0:1], v[174:175]
	s_delay_alu instid0(VALU_DEP_1) | instskip(SKIP_3) | instid1(VALU_DEP_1)
	v_fma_f64 v[32:33], v[2:3], v[172:173], v[0:1]
	ds_load_b128 v[0:3], v138 offset:23296
	s_waitcnt lgkmcnt(0)
	v_mul_f64 v[6:7], v[2:3], v[170:171]
	v_fma_f64 v[42:43], v[0:1], v[168:169], -v[6:7]
	v_mul_f64 v[0:1], v[0:1], v[170:171]
	s_delay_alu instid0(VALU_DEP_2) | instskip(NEXT) | instid1(VALU_DEP_2)
	v_add_f64 v[100:101], v[34:35], v[42:43]
	v_fma_f64 v[40:41], v[2:3], v[168:169], v[0:1]
	ds_load_b128 v[0:3], v138 offset:27664
	v_add_f64 v[34:35], v[34:35], -v[42:43]
	s_waitcnt lgkmcnt(0)
	v_mul_f64 v[6:7], v[2:3], v[158:159]
	v_add_f64 v[102:103], v[32:33], v[40:41]
	s_delay_alu instid0(VALU_DEP_2) | instskip(SKIP_1) | instid1(VALU_DEP_2)
	v_fma_f64 v[50:51], v[0:1], v[156:157], -v[6:7]
	v_mul_f64 v[0:1], v[0:1], v[158:159]
	v_add_f64 v[84:85], v[30:31], v[50:51]
	s_delay_alu instid0(VALU_DEP_2) | instskip(SKIP_3) | instid1(VALU_DEP_3)
	v_fma_f64 v[46:47], v[2:3], v[156:157], v[0:1]
	v_mul_u32_u24_e32 v0, 0x6817, v78
	v_add_f64 v[50:51], v[30:31], -v[50:51]
	v_add_f64 v[30:31], v[32:33], -v[40:41]
	v_lshrrev_b32_e32 v0, 16, v0
	s_delay_alu instid0(VALU_DEP_1) | instskip(NEXT) | instid1(VALU_DEP_1)
	v_sub_nc_u16 v1, v208, v0
	v_lshrrev_b16 v1, 1, v1
	s_delay_alu instid0(VALU_DEP_1) | instskip(NEXT) | instid1(VALU_DEP_1)
	v_add_nc_u16 v0, v1, v0
	v_lshrrev_b16 v0, 6, v0
	s_delay_alu instid0(VALU_DEP_1) | instskip(NEXT) | instid1(VALU_DEP_1)
	v_mul_lo_u16 v0, 0x5b, v0
	v_sub_nc_u16 v137, v208, v0
	v_add_f64 v[88:89], v[28:29], v[46:47]
	v_add_f64 v[46:47], v[28:29], -v[46:47]
	s_delay_alu instid0(VALU_DEP_3) | instskip(NEXT) | instid1(VALU_DEP_1)
	v_mul_lo_u16 v0, 0x60, v137
	v_and_b32_e32 v0, 0xffff, v0
	s_delay_alu instid0(VALU_DEP_1) | instskip(NEXT) | instid1(VALU_DEP_1)
	v_add_co_u32 v6, s28, s2, v0
	v_add_co_ci_u32_e64 v7, null, s3, 0, s28
	ds_load_b128 v[0:3], v138 offset:7280
	s_clause 0x3
	global_load_b128 v[10:13], v[6:7], off offset:1248
	global_load_b128 v[20:23], v[6:7], off offset:1264
	;; [unrolled: 1-line block ×4, first 2 shown]
	s_waitcnt vmcnt(3) lgkmcnt(0)
	v_mul_f64 v[8:9], v[2:3], v[12:13]
	scratch_store_b128 off, v[10:13], off offset:716 ; 16-byte Folded Spill
	s_waitcnt vmcnt(2)
	scratch_store_b128 off, v[20:23], off offset:668 ; 16-byte Folded Spill
	s_waitcnt vmcnt(1)
	scratch_store_b128 off, v[24:27], off offset:684 ; 16-byte Folded Spill
	v_fma_f64 v[14:15], v[0:1], v[10:11], -v[8:9]
	v_mul_f64 v[0:1], v[0:1], v[12:13]
	s_delay_alu instid0(VALU_DEP_1) | instskip(SKIP_3) | instid1(VALU_DEP_1)
	v_fma_f64 v[12:13], v[2:3], v[10:11], v[0:1]
	ds_load_b128 v[0:3], v138 offset:11648
	s_waitcnt lgkmcnt(0)
	v_mul_f64 v[8:9], v[2:3], v[22:23]
	v_fma_f64 v[18:19], v[0:1], v[20:21], -v[8:9]
	v_mul_f64 v[0:1], v[0:1], v[22:23]
	s_delay_alu instid0(VALU_DEP_1) | instskip(SKIP_3) | instid1(VALU_DEP_1)
	v_fma_f64 v[16:17], v[2:3], v[20:21], v[0:1]
	ds_load_b128 v[0:3], v138 offset:29120
	s_waitcnt lgkmcnt(0)
	v_mul_f64 v[8:9], v[2:3], v[26:27]
	v_fma_f64 v[22:23], v[0:1], v[24:25], -v[8:9]
	v_mul_f64 v[0:1], v[0:1], v[26:27]
	s_delay_alu instid0(VALU_DEP_2) | instskip(NEXT) | instid1(VALU_DEP_2)
	v_add_f64 v[62:63], v[14:15], v[22:23]
	v_fma_f64 v[20:21], v[2:3], v[24:25], v[0:1]
	ds_load_b128 v[0:3], v138 offset:24752
	v_add_f64 v[22:23], v[14:15], -v[22:23]
	s_waitcnt vmcnt(0) lgkmcnt(0)
	v_mul_f64 v[8:9], v[2:3], v[38:39]
	v_add_f64 v[66:67], v[12:13], v[20:21]
	v_add_f64 v[20:21], v[12:13], -v[20:21]
	s_delay_alu instid0(VALU_DEP_3) | instskip(SKIP_1) | instid1(VALU_DEP_2)
	v_fma_f64 v[26:27], v[0:1], v[36:37], -v[8:9]
	v_mul_f64 v[0:1], v[0:1], v[38:39]
	v_add_f64 v[80:81], v[18:19], v[26:27]
	s_delay_alu instid0(VALU_DEP_2)
	v_fma_f64 v[24:25], v[2:3], v[36:37], v[0:1]
	ds_load_b128 v[0:3], v138 offset:13104
	v_add_f64 v[18:19], v[18:19], -v[26:27]
	s_waitcnt lgkmcnt(0)
	v_mul_f64 v[8:9], v[2:3], v[166:167]
	v_add_f64 v[82:83], v[16:17], v[24:25]
	v_add_f64 v[14:15], v[16:17], -v[24:25]
	s_delay_alu instid0(VALU_DEP_3)
	v_fma_f64 v[78:79], v[0:1], v[164:165], -v[8:9]
	v_mul_f64 v[0:1], v[0:1], v[166:167]
	global_load_b128 v[8:11], v[6:7], off offset:1280
	scratch_store_b128 off, v[36:39], off offset:700 ; 16-byte Folded Spill
	v_fma_f64 v[120:121], v[2:3], v[164:165], v[0:1]
	ds_load_b128 v[0:3], v138 offset:17472
	s_waitcnt lgkmcnt(0)
	v_mul_f64 v[4:5], v[2:3], v[162:163]
	s_delay_alu instid0(VALU_DEP_1) | instskip(SKIP_1) | instid1(VALU_DEP_2)
	v_fma_f64 v[122:123], v[0:1], v[160:161], -v[4:5]
	v_mul_f64 v[0:1], v[0:1], v[162:163]
	v_add_f64 v[74:75], v[78:79], v[122:123]
	s_delay_alu instid0(VALU_DEP_2)
	v_fma_f64 v[124:125], v[2:3], v[160:161], v[0:1]
	ds_load_b128 v[0:3], v138 offset:14560
	v_add_f64 v[192:193], v[122:123], -v[78:79]
	s_waitcnt lgkmcnt(0)
	v_mul_f64 v[4:5], v[2:3], v[166:167]
	v_add_f64 v[76:77], v[74:75], -v[126:127]
	v_add_f64 v[94:95], v[120:121], v[124:125]
	v_add_f64 v[198:199], v[124:125], -v[120:121]
	v_add_f64 v[116:117], v[192:193], -v[112:113]
	v_add_f64 v[106:107], v[192:193], v[112:113]
	v_add_f64 v[112:113], v[112:113], -v[196:197]
	v_fma_f64 v[54:55], v[0:1], v[164:165], -v[4:5]
	v_mul_f64 v[0:1], v[0:1], v[166:167]
	v_add_f64 v[78:79], v[94:95], -v[130:131]
	v_add_f64 v[118:119], v[198:199], v[114:115]
	v_add_f64 v[120:121], v[198:199], -v[114:115]
	v_add_f64 v[114:115], v[114:115], -v[200:201]
	v_mul_f64 v[202:203], v[116:117], s[18:19]
	v_mul_f64 v[116:117], v[76:77], s[0:1]
	v_add_f64 v[106:107], v[106:107], v[196:197]
	v_fma_f64 v[52:53], v[2:3], v[164:165], v[0:1]
	ds_load_b128 v[0:3], v138 offset:18928
	v_add_f64 v[194:195], v[118:119], v[200:201]
	v_mul_f64 v[204:205], v[120:121], s[18:19]
	v_mul_f64 v[118:119], v[78:79], s[0:1]
	v_fma_f64 v[124:125], v[112:113], s[12:13], -v[202:203]
	s_waitcnt lgkmcnt(0)
	v_mul_f64 v[4:5], v[2:3], v[162:163]
	v_fma_f64 v[116:117], v[108:109], s[16:17], -v[116:117]
	s_delay_alu instid0(VALU_DEP_4) | instskip(NEXT) | instid1(VALU_DEP_4)
	v_fma_f64 v[118:119], v[110:111], s[16:17], -v[118:119]
	v_fma_f64 v[124:125], v[106:107], s[8:9], v[124:125]
	s_delay_alu instid0(VALU_DEP_4)
	v_fma_f64 v[58:59], v[0:1], v[160:161], -v[4:5]
	v_mul_f64 v[0:1], v[0:1], v[162:163]
	s_waitcnt vmcnt(0)
	scratch_store_b128 off, v[8:11], off offset:636 ; 16-byte Folded Spill
	v_add_f64 v[86:87], v[54:55], v[58:59]
	v_fma_f64 v[56:57], v[2:3], v[160:161], v[0:1]
	ds_load_b128 v[0:3], v138 offset:16016
	v_add_f64 v[42:43], v[58:59], -v[54:55]
	v_add_f64 v[54:55], v[100:101], -v[84:85]
	;; [unrolled: 1-line block ×3, first 2 shown]
	s_waitcnt lgkmcnt(0)
	v_mul_f64 v[4:5], v[2:3], v[10:11]
	v_add_f64 v[90:91], v[52:53], v[56:57]
	v_add_f64 v[40:41], v[56:57], -v[52:53]
	v_add_f64 v[28:29], v[42:43], v[34:35]
	v_add_f64 v[32:33], v[42:43], -v[34:35]
	v_add_f64 v[52:53], v[34:35], -v[50:51]
	;; [unrolled: 1-line block ×3, first 2 shown]
	v_fma_f64 v[38:39], v[0:1], v[8:9], -v[4:5]
	v_mul_f64 v[0:1], v[0:1], v[10:11]
	v_add_f64 v[34:35], v[40:41], v[30:31]
	s_delay_alu instid0(VALU_DEP_2)
	v_fma_f64 v[36:37], v[2:3], v[8:9], v[0:1]
	global_load_b128 v[6:9], v[6:7], off offset:1296
	ds_load_b128 v[0:3], v138 offset:20384
	s_waitcnt vmcnt(0) lgkmcnt(0)
	v_mul_f64 v[4:5], v[2:3], v[8:9]
	scratch_store_b128 off, v[6:9], off offset:652 ; 16-byte Folded Spill
	v_fma_f64 v[48:49], v[0:1], v[6:7], -v[4:5]
	v_mul_f64 v[0:1], v[0:1], v[8:9]
	v_add_f64 v[4:5], v[100:101], v[84:85]
	v_add_f64 v[100:101], v[30:31], -v[46:47]
	v_add_f64 v[84:85], v[84:85], -v[86:87]
	v_add_f64 v[64:65], v[38:39], v[48:49]
	v_fma_f64 v[44:45], v[2:3], v[6:7], v[0:1]
	v_add_f64 v[0:1], v[126:127], v[60:61]
	v_add_f64 v[96:97], v[86:87], v[4:5]
	v_add_f64 v[4:5], v[102:103], v[88:89]
	v_fma_f64 v[126:127], v[114:115], s[12:13], -v[204:205]
	v_add_f64 v[60:61], v[60:61], -v[74:75]
	v_add_f64 v[86:87], v[88:89], -v[90:91]
	;; [unrolled: 1-line block ×3, first 2 shown]
	v_mul_f64 v[42:43], v[100:101], s[12:13]
	v_mul_f64 v[84:85], v[84:85], s[22:23]
	v_add_f64 v[26:27], v[48:49], -v[38:39]
	v_add_f64 v[48:49], v[18:19], -v[22:23]
	;; [unrolled: 1-line block ×3, first 2 shown]
	v_add_f64 v[68:69], v[36:37], v[44:45]
	v_add_f64 v[128:129], v[74:75], v[0:1]
	;; [unrolled: 1-line block ×4, first 2 shown]
	ds_load_b128 v[4:7], v138 offset:1456
	v_fma_f64 v[126:127], v[194:195], s[8:9], v[126:127]
	v_add_f64 v[74:75], v[92:93], -v[94:95]
	v_mul_f64 v[92:93], v[112:113], s[12:13]
	v_mul_f64 v[60:61], v[60:61], s[22:23]
	v_mul_f64 v[86:87], v[86:87], s[22:23]
	v_add_f64 v[24:25], v[44:45], -v[36:37]
	v_add_f64 v[16:17], v[26:27], -v[18:19]
	;; [unrolled: 1-line block ×3, first 2 shown]
	v_add_f64 v[12:13], v[26:27], v[18:19]
	v_add_f64 v[44:45], v[82:83], -v[66:67]
	s_waitcnt lgkmcnt(0)
	v_add_f64 v[8:9], v[4:5], v[96:97]
	v_add_f64 v[4:5], v[80:81], v[62:63]
	v_add_f64 v[80:81], v[14:15], -v[20:21]
	v_add_f64 v[62:63], v[62:63], -v[64:65]
	v_add_f64 v[132:133], v[94:95], v[0:1]
	ds_load_b128 v[0:3], v138
	v_mul_f64 v[94:95], v[114:115], s[12:13]
	v_add_f64 v[10:11], v[6:7], v[98:99]
	v_mul_f64 v[74:75], v[74:75], s[22:23]
	v_fma_f64 v[108:109], v[108:109], s[24:25], -v[60:61]
	v_fma_f64 v[60:61], v[76:77], s[0:1], v[60:61]
	v_add_f64 v[18:19], v[24:25], v[14:15]
	s_waitcnt lgkmcnt(0)
	v_add_f64 v[0:1], v[0:1], v[128:129]
	v_fma_f64 v[96:97], v[96:97], s[14:15], v[8:9]
	v_add_f64 v[70:71], v[64:65], v[4:5]
	v_add_f64 v[4:5], v[82:83], v[66:67]
	v_add_f64 v[64:65], v[66:67], -v[68:69]
	v_add_f64 v[66:67], v[22:23], -v[26:27]
	v_add_f64 v[2:3], v[2:3], v[132:133]
	v_fma_f64 v[98:99], v[98:99], s[14:15], v[10:11]
	v_fma_f64 v[110:111], v[110:111], s[24:25], -v[74:75]
	v_fma_f64 v[74:75], v[78:79], s[0:1], v[74:75]
	v_fma_f64 v[120:121], v[128:129], s[14:15], v[0:1]
	v_add_f64 v[72:73], v[68:69], v[4:5]
	ds_load_b128 v[4:7], v138 offset:2912
	s_waitcnt lgkmcnt(0)
	s_waitcnt_vscnt null, 0x0
	s_barrier
	buffer_gl0_inv
	v_fma_f64 v[122:123], v[132:133], s[14:15], v[2:3]
	v_add_f64 v[4:5], v[4:5], v[70:71]
	v_add_f64 v[116:117], v[116:117], v[120:121]
	;; [unrolled: 1-line block ×7, first 2 shown]
	v_fma_f64 v[70:71], v[70:71], s[14:15], v[4:5]
	v_add_f64 v[209:210], v[116:117], -v[126:127]
	v_add_f64 v[213:214], v[126:127], v[116:117]
	v_add_f64 v[116:117], v[196:197], -v[192:193]
	v_fma_f64 v[72:73], v[72:73], s[14:15], v[6:7]
	v_add_f64 v[211:212], v[124:125], v[118:119]
	v_add_f64 v[215:216], v[118:119], -v[124:125]
	v_add_f64 v[118:119], v[200:201], -v[198:199]
	v_fma_f64 v[92:93], v[116:117], s[26:27], -v[92:93]
	s_delay_alu instid0(VALU_DEP_2) | instskip(NEXT) | instid1(VALU_DEP_2)
	v_fma_f64 v[94:95], v[118:119], s[26:27], -v[94:95]
	v_fma_f64 v[112:113], v[106:107], s[8:9], v[92:93]
	s_delay_alu instid0(VALU_DEP_2) | instskip(NEXT) | instid1(VALU_DEP_2)
	v_fma_f64 v[114:115], v[194:195], s[8:9], v[94:95]
	v_add_f64 v[94:95], v[110:111], -v[112:113]
	v_add_f64 v[110:111], v[112:113], v[110:111]
	v_fma_f64 v[112:113], v[116:117], s[20:21], v[202:203]
	v_add_f64 v[116:117], v[34:35], v[46:47]
	v_add_f64 v[46:47], v[46:47], -v[40:41]
	v_add_f64 v[92:93], v[114:115], v[108:109]
	v_add_f64 v[108:109], v[108:109], -v[114:115]
	v_fma_f64 v[114:115], v[118:119], s[20:21], v[204:205]
	v_fma_f64 v[78:79], v[106:107], s[8:9], v[112:113]
	v_fma_f64 v[42:43], v[46:47], s[26:27], -v[42:43]
	s_delay_alu instid0(VALU_DEP_3) | instskip(SKIP_1) | instid1(VALU_DEP_2)
	v_fma_f64 v[106:107], v[194:195], s[8:9], v[114:115]
	v_add_f64 v[114:115], v[74:75], v[122:123]
	v_add_f64 v[74:75], v[106:107], v[60:61]
	s_delay_alu instid0(VALU_DEP_2)
	v_add_f64 v[76:77], v[114:115], -v[78:79]
	v_add_f64 v[112:113], v[60:61], -v[106:107]
	v_add_f64 v[114:115], v[78:79], v[114:115]
	v_add_f64 v[60:61], v[90:91], -v[102:103]
	v_add_f64 v[78:79], v[40:41], -v[30:31]
	v_mul_f64 v[106:107], v[32:33], s[18:19]
	v_mul_f64 v[40:41], v[52:53], s[12:13]
	v_add_f64 v[102:103], v[28:29], v[50:51]
	v_mul_f64 v[28:29], v[56:57], s[0:1]
	v_fma_f64 v[50:51], v[54:55], s[24:25], -v[84:85]
	v_fma_f64 v[56:57], v[56:57], s[0:1], v[84:85]
	v_mul_f64 v[30:31], v[60:61], s[0:1]
	v_mul_f64 v[78:79], v[78:79], s[18:19]
	v_fma_f64 v[32:33], v[52:53], s[12:13], -v[106:107]
	v_fma_f64 v[40:41], v[88:89], s[26:27], -v[40:41]
	;; [unrolled: 1-line block ×4, first 2 shown]
	v_add_f64 v[50:51], v[50:51], v[96:97]
	v_fma_f64 v[30:31], v[58:59], s[16:17], -v[30:31]
	v_fma_f64 v[58:59], v[116:117], s[8:9], v[42:43]
	v_fma_f64 v[46:47], v[46:47], s[20:21], v[78:79]
	;; [unrolled: 1-line block ×3, first 2 shown]
	v_add_f64 v[52:53], v[52:53], v[98:99]
	v_fma_f64 v[34:35], v[102:103], s[8:9], v[32:33]
	v_fma_f64 v[32:33], v[100:101], s[12:13], -v[78:79]
	v_add_f64 v[78:79], v[56:57], v[96:97]
	v_add_f64 v[118:119], v[28:29], v[96:97]
	;; [unrolled: 1-line block ×4, first 2 shown]
	v_add_f64 v[50:51], v[50:51], -v[58:59]
	v_fma_f64 v[58:59], v[60:61], s[0:1], v[86:87]
	v_add_f64 v[42:43], v[52:53], -v[54:55]
	v_add_f64 v[52:53], v[54:55], v[52:53]
	v_fma_f64 v[54:55], v[88:89], s[20:21], v[106:107]
	v_fma_f64 v[46:47], v[116:117], s[8:9], v[46:47]
	v_mul_f64 v[86:87], v[16:17], s[18:19]
	v_fma_f64 v[32:33], v[116:117], s[8:9], v[32:33]
	v_add_f64 v[30:31], v[34:35], v[120:121]
	v_add_f64 v[34:35], v[120:121], -v[34:35]
	v_add_f64 v[84:85], v[58:59], v[98:99]
	v_fma_f64 v[60:61], v[102:103], s[8:9], v[54:55]
	v_add_f64 v[54:55], v[46:47], v[78:79]
	v_add_f64 v[58:59], v[78:79], -v[46:47]
	v_add_f64 v[46:47], v[68:69], -v[82:83]
	v_add_f64 v[82:83], v[12:13], v[22:23]
	v_fma_f64 v[16:17], v[48:49], s[12:13], -v[86:87]
	v_add_f64 v[68:69], v[20:21], -v[24:25]
	v_mul_f64 v[22:23], v[80:81], s[12:13]
	v_add_f64 v[78:79], v[24:25], -v[14:15]
	v_mul_f64 v[12:13], v[38:39], s[0:1]
	v_add_f64 v[28:29], v[118:119], -v[32:33]
	v_add_f64 v[32:33], v[32:33], v[118:119]
	v_add_f64 v[56:57], v[84:85], -v[60:61]
	v_add_f64 v[60:61], v[60:61], v[84:85]
	v_add_f64 v[84:85], v[18:19], v[20:21]
	v_mul_f64 v[20:21], v[48:49], s[12:13]
	v_mul_f64 v[48:49], v[62:63], s[22:23]
	v_mul_f64 v[62:63], v[64:65], s[22:23]
	v_mul_f64 v[14:15], v[46:47], s[0:1]
	v_fma_f64 v[22:23], v[68:69], s[26:27], -v[22:23]
	v_mul_f64 v[78:79], v[78:79], s[18:19]
	v_fma_f64 v[12:13], v[36:37], s[16:17], -v[12:13]
	v_fma_f64 v[18:19], v[82:83], s[8:9], v[16:17]
	ds_store_b128 v138, v[0:3]
	ds_store_b128 v138, v[8:11] offset:10192
	ds_store_b128 v138, v[74:77] offset:1456
	;; [unrolled: 1-line block ×13, first 2 shown]
	v_and_b32_e32 v0, 0xffff, v137
	s_delay_alu instid0(VALU_DEP_1)
	v_lshlrev_b32_e32 v0, 4, v0
	v_fma_f64 v[20:21], v[66:67], s[26:27], -v[20:21]
	v_fma_f64 v[24:25], v[36:37], s[24:25], -v[48:49]
	;; [unrolled: 1-line block ×4, first 2 shown]
	v_fma_f64 v[44:45], v[84:85], s[8:9], v[22:23]
	v_fma_f64 v[38:39], v[38:39], s[0:1], v[48:49]
	;; [unrolled: 1-line block ×3, first 2 shown]
	v_fma_f64 v[16:17], v[80:81], s[12:13], -v[78:79]
	v_add_f64 v[88:89], v[12:13], v[70:71]
	v_fma_f64 v[36:37], v[82:83], s[8:9], v[20:21]
	v_add_f64 v[24:25], v[24:25], v[70:71]
	v_add_f64 v[26:27], v[26:27], v[72:73]
	;; [unrolled: 1-line block ×5, first 2 shown]
	v_fma_f64 v[16:17], v[84:85], s[8:9], v[16:17]
	v_add_f64 v[20:21], v[44:45], v[24:25]
	v_add_f64 v[22:23], v[26:27], -v[36:37]
	v_add_f64 v[24:25], v[24:25], -v[44:45]
	v_add_f64 v[26:27], v[36:37], v[26:27]
	v_fma_f64 v[36:37], v[66:67], s[20:21], v[86:87]
	v_fma_f64 v[44:45], v[68:69], s[20:21], v[78:79]
	v_add_f64 v[12:13], v[88:89], -v[16:17]
	v_add_f64 v[14:15], v[18:19], v[90:91]
	v_add_f64 v[16:17], v[16:17], v[88:89]
	v_add_f64 v[18:19], v[90:91], -v[18:19]
	v_fma_f64 v[48:49], v[82:83], s[8:9], v[36:37]
	v_fma_f64 v[44:45], v[84:85], s[8:9], v[44:45]
	s_delay_alu instid0(VALU_DEP_2) | instskip(NEXT) | instid1(VALU_DEP_2)
	v_add_f64 v[38:39], v[46:47], -v[48:49]
	v_add_f64 v[36:37], v[44:45], v[62:63]
	v_add_f64 v[44:45], v[62:63], -v[44:45]
	v_add_f64 v[46:47], v[48:49], v[46:47]
	ds_store_b128 v0, v[4:7] offset:20384
	ds_store_b128 v0, v[36:39] offset:21840
	;; [unrolled: 1-line block ×6, first 2 shown]
	v_lshlrev_b32_e32 v26, 5, v134
	scratch_store_b32 off, v0, off offset:808 ; 4-byte Folded Spill
	ds_store_b128 v0, v[44:47] offset:29120
	s_waitcnt lgkmcnt(0)
	s_waitcnt_vscnt null, 0x0
	s_barrier
	v_add_co_u32 v8, s0, s2, v26
	s_delay_alu instid0(VALU_DEP_1) | instskip(SKIP_2) | instid1(VALU_DEP_1)
	v_add_co_ci_u32_e64 v9, null, s3, 0, s0
	buffer_gl0_inv
	v_add_co_u32 v0, s0, 0x2000, v8
	v_add_co_ci_u32_e64 v1, s0, 0, v9, s0
	global_load_b128 v[10:13], v[0:1], off offset:1792
	ds_load_b128 v[0:3], v138 offset:10192
	s_waitcnt vmcnt(0) lgkmcnt(0)
	v_mul_f64 v[4:5], v[2:3], v[12:13]
	scratch_store_b128 off, v[10:13], off offset:740 ; 16-byte Folded Spill
	v_fma_f64 v[4:5], v[0:1], v[10:11], -v[4:5]
	v_mul_f64 v[0:1], v[0:1], v[12:13]
	s_delay_alu instid0(VALU_DEP_1) | instskip(SKIP_1) | instid1(VALU_DEP_1)
	v_fma_f64 v[6:7], v[2:3], v[10:11], v[0:1]
	v_add_co_u32 v0, s0, 0x2700, v8
	v_add_co_ci_u32_e64 v1, s0, 0, v9, s0
	global_load_b128 v[10:13], v[0:1], off offset:16
	ds_load_b128 v[0:3], v138 offset:20384
	s_waitcnt vmcnt(0) lgkmcnt(0)
	v_mul_f64 v[8:9], v[2:3], v[12:13]
	scratch_store_b128 off, v[10:13], off offset:760 ; 16-byte Folded Spill
	v_fma_f64 v[8:9], v[0:1], v[10:11], -v[8:9]
	v_mul_f64 v[0:1], v[0:1], v[12:13]
	s_delay_alu instid0(VALU_DEP_1) | instskip(SKIP_1) | instid1(VALU_DEP_1)
	v_fma_f64 v[10:11], v[2:3], v[10:11], v[0:1]
	v_lshlrev_b32_e32 v0, 5, v252
	v_add_co_u32 v16, s0, s2, v0
	s_delay_alu instid0(VALU_DEP_1) | instskip(NEXT) | instid1(VALU_DEP_2)
	v_add_co_ci_u32_e64 v17, null, s3, 0, s0
	v_add_co_u32 v0, s0, 0x2000, v16
	s_delay_alu instid0(VALU_DEP_1)
	v_add_co_ci_u32_e64 v1, s0, 0, v17, s0
	global_load_b128 v[18:21], v[0:1], off offset:1792
	ds_load_b128 v[0:3], v138 offset:11648
	s_waitcnt vmcnt(0) lgkmcnt(0)
	v_mul_f64 v[12:13], v[2:3], v[20:21]
	scratch_store_b128 off, v[18:21], off offset:776 ; 16-byte Folded Spill
	v_fma_f64 v[12:13], v[0:1], v[18:19], -v[12:13]
	v_mul_f64 v[0:1], v[0:1], v[20:21]
	s_delay_alu instid0(VALU_DEP_1) | instskip(SKIP_1) | instid1(VALU_DEP_1)
	v_fma_f64 v[14:15], v[2:3], v[18:19], v[0:1]
	v_add_co_u32 v0, s0, 0x2700, v16
	v_add_co_ci_u32_e64 v1, s0, 0, v17, s0
	global_load_b128 v[18:21], v[0:1], off offset:16
	ds_load_b128 v[0:3], v138 offset:21840
	s_waitcnt vmcnt(0) lgkmcnt(0)
	v_mul_f64 v[16:17], v[2:3], v[20:21]
	scratch_store_b128 off, v[18:21], off offset:792 ; 16-byte Folded Spill
	v_fma_f64 v[16:17], v[0:1], v[18:19], -v[16:17]
	v_mul_f64 v[0:1], v[0:1], v[20:21]
	s_delay_alu instid0(VALU_DEP_1) | instskip(SKIP_1) | instid1(VALU_DEP_1)
	v_fma_f64 v[18:19], v[2:3], v[18:19], v[0:1]
	v_lshlrev_b32_e32 v0, 5, v208
	v_add_co_u32 v24, s0, s2, v0
	s_delay_alu instid0(VALU_DEP_1) | instskip(NEXT) | instid1(VALU_DEP_2)
	v_add_co_ci_u32_e64 v25, null, s3, 0, s0
	v_add_co_u32 v0, s0, 0x2000, v24
	s_delay_alu instid0(VALU_DEP_1) | instskip(SKIP_4) | instid1(VALU_DEP_1)
	v_add_co_ci_u32_e64 v1, s0, 0, v25, s0
	global_load_b128 v[208:211], v[0:1], off offset:1792
	ds_load_b128 v[0:3], v138 offset:13104
	s_waitcnt vmcnt(0) lgkmcnt(0)
	v_mul_f64 v[20:21], v[2:3], v[210:211]
	v_fma_f64 v[20:21], v[0:1], v[208:209], -v[20:21]
	v_mul_f64 v[0:1], v[0:1], v[210:211]
	s_delay_alu instid0(VALU_DEP_1) | instskip(SKIP_1) | instid1(VALU_DEP_1)
	v_fma_f64 v[22:23], v[2:3], v[208:209], v[0:1]
	v_add_co_u32 v0, s0, 0x2700, v24
	v_add_co_ci_u32_e64 v1, s0, 0, v25, s0
	global_load_b128 v[212:215], v[0:1], off offset:16
	ds_load_b128 v[0:3], v138 offset:23296
	s_waitcnt vmcnt(0) lgkmcnt(0)
	v_mul_f64 v[24:25], v[2:3], v[214:215]
	s_delay_alu instid0(VALU_DEP_1) | instskip(SKIP_1) | instid1(VALU_DEP_1)
	v_fma_f64 v[52:53], v[0:1], v[212:213], -v[24:25]
	v_mul_f64 v[0:1], v[0:1], v[214:215]
	v_fma_f64 v[48:49], v[2:3], v[212:213], v[0:1]
	v_add_nc_u32_e32 v0, 0x2220, v26
	s_delay_alu instid0(VALU_DEP_1) | instskip(NEXT) | instid1(VALU_DEP_1)
	v_add_co_u32 v27, s0, s2, v0
	v_add_co_ci_u32_e64 v28, null, s3, 0, s0
	s_delay_alu instid0(VALU_DEP_2) | instskip(NEXT) | instid1(VALU_DEP_1)
	v_add_co_u32 v0, s0, 0x2000, v27
	v_add_co_ci_u32_e64 v1, s0, 0, v28, s0
	global_load_b128 v[216:219], v[0:1], off offset:1792
	ds_load_b128 v[0:3], v138 offset:14560
	s_waitcnt vmcnt(0) lgkmcnt(0)
	v_mul_f64 v[24:25], v[2:3], v[218:219]
	s_delay_alu instid0(VALU_DEP_1) | instskip(SKIP_1) | instid1(VALU_DEP_1)
	v_fma_f64 v[64:65], v[0:1], v[216:217], -v[24:25]
	v_mul_f64 v[0:1], v[0:1], v[218:219]
	v_fma_f64 v[60:61], v[2:3], v[216:217], v[0:1]
	v_add_co_u32 v0, s0, 0x2700, v27
	s_delay_alu instid0(VALU_DEP_1) | instskip(SKIP_4) | instid1(VALU_DEP_1)
	v_add_co_ci_u32_e64 v1, s0, 0, v28, s0
	global_load_b128 v[220:223], v[0:1], off offset:16
	ds_load_b128 v[0:3], v138 offset:24752
	s_waitcnt vmcnt(0) lgkmcnt(0)
	v_mul_f64 v[24:25], v[2:3], v[222:223]
	v_fma_f64 v[66:67], v[0:1], v[220:221], -v[24:25]
	v_mul_f64 v[0:1], v[0:1], v[222:223]
	s_delay_alu instid0(VALU_DEP_1) | instskip(SKIP_1) | instid1(VALU_DEP_1)
	v_fma_f64 v[62:63], v[2:3], v[220:221], v[0:1]
	v_add_nc_u32_e32 v0, 0x2d80, v26
	v_add_co_u32 v27, s0, s2, v0
	s_delay_alu instid0(VALU_DEP_1) | instskip(NEXT) | instid1(VALU_DEP_2)
	v_add_co_ci_u32_e64 v28, null, s3, 0, s0
	v_add_co_u32 v0, s0, 0x2000, v27
	s_delay_alu instid0(VALU_DEP_1) | instskip(SKIP_4) | instid1(VALU_DEP_1)
	v_add_co_ci_u32_e64 v1, s0, 0, v28, s0
	global_load_b128 v[224:227], v[0:1], off offset:1792
	ds_load_b128 v[0:3], v138 offset:16016
	s_waitcnt vmcnt(0) lgkmcnt(0)
	v_mul_f64 v[24:25], v[2:3], v[226:227]
	v_fma_f64 v[76:77], v[0:1], v[224:225], -v[24:25]
	v_mul_f64 v[0:1], v[0:1], v[226:227]
	s_delay_alu instid0(VALU_DEP_1) | instskip(SKIP_1) | instid1(VALU_DEP_1)
	v_fma_f64 v[72:73], v[2:3], v[224:225], v[0:1]
	v_add_co_u32 v0, s0, 0x2700, v27
	v_add_co_ci_u32_e64 v1, s0, 0, v28, s0
	global_load_b128 v[228:231], v[0:1], off offset:16
	ds_load_b128 v[0:3], v138 offset:26208
	s_waitcnt vmcnt(0) lgkmcnt(0)
	v_mul_f64 v[24:25], v[2:3], v[230:231]
	s_delay_alu instid0(VALU_DEP_1) | instskip(SKIP_1) | instid1(VALU_DEP_1)
	v_fma_f64 v[78:79], v[0:1], v[228:229], -v[24:25]
	v_mul_f64 v[0:1], v[0:1], v[230:231]
	v_fma_f64 v[74:75], v[2:3], v[228:229], v[0:1]
	v_add_nc_u32_e32 v0, 0x38e0, v26
	s_delay_alu instid0(VALU_DEP_1) | instskip(NEXT) | instid1(VALU_DEP_1)
	v_add_co_u32 v27, s0, s2, v0
	v_add_co_ci_u32_e64 v28, null, s3, 0, s0
	s_delay_alu instid0(VALU_DEP_2) | instskip(NEXT) | instid1(VALU_DEP_1)
	v_add_co_u32 v0, s0, 0x2000, v27
	v_add_co_ci_u32_e64 v1, s0, 0, v28, s0
	global_load_b128 v[232:235], v[0:1], off offset:1792
	ds_load_b128 v[0:3], v138 offset:17472
	s_waitcnt vmcnt(0) lgkmcnt(0)
	v_mul_f64 v[24:25], v[2:3], v[234:235]
	s_delay_alu instid0(VALU_DEP_1) | instskip(SKIP_1) | instid1(VALU_DEP_1)
	v_fma_f64 v[80:81], v[0:1], v[232:233], -v[24:25]
	v_mul_f64 v[0:1], v[0:1], v[234:235]
	v_fma_f64 v[82:83], v[2:3], v[232:233], v[0:1]
	v_add_co_u32 v0, s0, 0x2700, v27
	s_delay_alu instid0(VALU_DEP_1) | instskip(SKIP_4) | instid1(VALU_DEP_1)
	v_add_co_ci_u32_e64 v1, s0, 0, v28, s0
	global_load_b128 v[236:239], v[0:1], off offset:16
	ds_load_b128 v[0:3], v138 offset:27664
	s_waitcnt vmcnt(0) lgkmcnt(0)
	v_mul_f64 v[24:25], v[2:3], v[238:239]
	v_fma_f64 v[84:85], v[0:1], v[236:237], -v[24:25]
	v_mul_f64 v[0:1], v[0:1], v[238:239]
	s_delay_alu instid0(VALU_DEP_1) | instskip(SKIP_1) | instid1(VALU_DEP_1)
	v_fma_f64 v[86:87], v[2:3], v[236:237], v[0:1]
	v_add_nc_u32_e32 v0, 0x4440, v26
	v_add_co_u32 v26, s0, s2, v0
	s_delay_alu instid0(VALU_DEP_1) | instskip(SKIP_1) | instid1(VALU_DEP_2)
	v_add_co_ci_u32_e64 v27, null, s3, 0, s0
	s_mov_b32 s3, 0xbfebb67a
	v_add_co_u32 v0, s0, 0x2000, v26
	s_delay_alu instid0(VALU_DEP_1) | instskip(SKIP_4) | instid1(VALU_DEP_1)
	v_add_co_ci_u32_e64 v1, s0, 0, v27, s0
	global_load_b128 v[240:243], v[0:1], off offset:1792
	ds_load_b128 v[0:3], v138 offset:18928
	s_waitcnt vmcnt(0) lgkmcnt(0)
	v_mul_f64 v[24:25], v[2:3], v[242:243]
	v_fma_f64 v[88:89], v[0:1], v[240:241], -v[24:25]
	v_mul_f64 v[0:1], v[0:1], v[242:243]
	s_delay_alu instid0(VALU_DEP_1) | instskip(SKIP_1) | instid1(VALU_DEP_1)
	v_fma_f64 v[90:91], v[2:3], v[240:241], v[0:1]
	v_add_co_u32 v0, s0, 0x2700, v26
	v_add_co_ci_u32_e64 v1, s0, 0, v27, s0
	s_mov_b32 s0, 0xe8584caa
	s_mov_b32 s1, 0x3febb67a
	;; [unrolled: 1-line block ×3, first 2 shown]
	global_load_b128 v[244:247], v[0:1], off offset:16
	ds_load_b128 v[0:3], v138 offset:29120
	s_waitcnt vmcnt(0) lgkmcnt(0)
	v_mul_f64 v[24:25], v[2:3], v[246:247]
	s_delay_alu instid0(VALU_DEP_1) | instskip(SKIP_2) | instid1(VALU_DEP_2)
	v_fma_f64 v[92:93], v[0:1], v[244:245], -v[24:25]
	v_mul_f64 v[0:1], v[0:1], v[246:247]
	v_add_f64 v[24:25], v[4:5], v[8:9]
	v_fma_f64 v[94:95], v[2:3], v[244:245], v[0:1]
	ds_load_b128 v[0:3], v138
	s_waitcnt lgkmcnt(0)
	v_fma_f64 v[30:31], v[24:25], -0.5, v[0:1]
	v_add_f64 v[24:25], v[6:7], v[10:11]
	v_add_f64 v[0:1], v[0:1], v[4:5]
	s_delay_alu instid0(VALU_DEP_2) | instskip(SKIP_2) | instid1(VALU_DEP_4)
	v_fma_f64 v[34:35], v[24:25], -0.5, v[2:3]
	v_add_f64 v[2:3], v[2:3], v[6:7]
	v_add_f64 v[6:7], v[6:7], -v[10:11]
	v_add_f64 v[24:25], v[0:1], v[8:9]
	v_add_f64 v[0:1], v[4:5], -v[8:9]
	;; [unrolled: 2-line block ×3, first 2 shown]
	v_add_f64 v[26:27], v[2:3], v[10:11]
	v_fma_f64 v[28:29], v[6:7], s[0:1], v[30:31]
	v_fma_f64 v[32:33], v[6:7], s[2:3], v[30:31]
	v_fma_f64 v[30:31], v[0:1], s[2:3], v[34:35]
	v_fma_f64 v[34:35], v[0:1], s[0:1], v[34:35]
	ds_load_b128 v[0:3], v138 offset:1456
	v_add_f64 v[6:7], v[14:15], v[18:19]
	s_waitcnt lgkmcnt(0)
	v_fma_f64 v[4:5], v[4:5], -0.5, v[0:1]
	v_add_f64 v[0:1], v[0:1], v[12:13]
	s_delay_alu instid0(VALU_DEP_3) | instskip(SKIP_1) | instid1(VALU_DEP_4)
	v_fma_f64 v[6:7], v[6:7], -0.5, v[2:3]
	v_add_f64 v[2:3], v[2:3], v[14:15]
	v_fma_f64 v[40:41], v[8:9], s[0:1], v[4:5]
	s_delay_alu instid0(VALU_DEP_4)
	v_add_f64 v[36:37], v[0:1], v[16:17]
	v_add_f64 v[0:1], v[12:13], -v[16:17]
	v_fma_f64 v[44:45], v[8:9], s[2:3], v[4:5]
	v_add_f64 v[4:5], v[20:21], v[52:53]
	v_add_f64 v[8:9], v[22:23], -v[48:49]
	v_add_f64 v[12:13], v[80:81], -v[84:85]
	v_add_f64 v[16:17], v[88:89], v[92:93]
	v_add_f64 v[38:39], v[2:3], v[18:19]
	;; [unrolled: 1-line block ×3, first 2 shown]
	v_fma_f64 v[42:43], v[0:1], s[2:3], v[6:7]
	v_fma_f64 v[46:47], v[0:1], s[0:1], v[6:7]
	v_add_f64 v[6:7], v[22:23], v[48:49]
	ds_load_b128 v[0:3], v138 offset:2912
	s_waitcnt lgkmcnt(0)
	v_fma_f64 v[4:5], v[4:5], -0.5, v[0:1]
	v_add_f64 v[0:1], v[0:1], v[20:21]
	v_fma_f64 v[6:7], v[6:7], -0.5, v[2:3]
	v_add_f64 v[2:3], v[2:3], v[22:23]
	v_add_f64 v[22:23], v[90:91], -v[94:95]
	v_fma_f64 v[56:57], v[8:9], s[2:3], v[4:5]
	s_delay_alu instid0(VALU_DEP_3)
	v_add_f64 v[50:51], v[2:3], v[48:49]
	v_add_f64 v[48:49], v[0:1], v[52:53]
	v_add_f64 v[0:1], v[20:21], -v[52:53]
	v_fma_f64 v[52:53], v[8:9], s[0:1], v[4:5]
	v_add_f64 v[4:5], v[64:65], v[66:67]
	v_add_f64 v[8:9], v[60:61], -v[62:63]
	s_delay_alu instid0(VALU_DEP_4)
	v_fma_f64 v[54:55], v[0:1], s[2:3], v[6:7]
	v_fma_f64 v[58:59], v[0:1], s[0:1], v[6:7]
	ds_load_b128 v[0:3], v138 offset:4368
	v_add_f64 v[6:7], v[60:61], v[62:63]
	s_waitcnt lgkmcnt(0)
	v_fma_f64 v[4:5], v[4:5], -0.5, v[0:1]
	v_add_f64 v[0:1], v[0:1], v[64:65]
	s_delay_alu instid0(VALU_DEP_3) | instskip(SKIP_1) | instid1(VALU_DEP_4)
	v_fma_f64 v[6:7], v[6:7], -0.5, v[2:3]
	v_add_f64 v[2:3], v[2:3], v[60:61]
	v_fma_f64 v[68:69], v[8:9], s[2:3], v[4:5]
	s_delay_alu instid0(VALU_DEP_4)
	v_add_f64 v[60:61], v[0:1], v[66:67]
	v_add_f64 v[0:1], v[64:65], -v[66:67]
	v_fma_f64 v[64:65], v[8:9], s[0:1], v[4:5]
	v_add_f64 v[4:5], v[76:77], v[78:79]
	v_add_f64 v[8:9], v[72:73], -v[74:75]
	v_add_f64 v[62:63], v[2:3], v[62:63]
	v_fma_f64 v[66:67], v[0:1], s[2:3], v[6:7]
	v_fma_f64 v[70:71], v[0:1], s[0:1], v[6:7]
	ds_load_b128 v[0:3], v138 offset:5824
	v_add_f64 v[6:7], v[72:73], v[74:75]
	s_waitcnt lgkmcnt(0)
	v_fma_f64 v[4:5], v[4:5], -0.5, v[0:1]
	v_add_f64 v[0:1], v[0:1], v[76:77]
	s_delay_alu instid0(VALU_DEP_3) | instskip(SKIP_1) | instid1(VALU_DEP_4)
	v_fma_f64 v[6:7], v[6:7], -0.5, v[2:3]
	v_add_f64 v[2:3], v[2:3], v[72:73]
	v_fma_f64 v[248:249], v[8:9], s[0:1], v[4:5]
	s_delay_alu instid0(VALU_DEP_4)
	v_add_f64 v[72:73], v[0:1], v[78:79]
	v_add_f64 v[0:1], v[76:77], -v[78:79]
	v_fma_f64 v[252:253], v[8:9], s[2:3], v[4:5]
	v_add_f64 v[4:5], v[80:81], v[84:85]
	v_add_f64 v[8:9], v[82:83], -v[86:87]
	v_add_f64 v[76:77], v[88:89], -v[92:93]
	v_add_f64 v[74:75], v[2:3], v[74:75]
	v_fma_f64 v[250:251], v[0:1], s[2:3], v[6:7]
	v_fma_f64 v[254:255], v[0:1], s[0:1], v[6:7]
	ds_load_b128 v[0:3], v138 offset:7280
	s_waitcnt lgkmcnt(0)
	v_fma_f64 v[6:7], v[4:5], -0.5, v[0:1]
	v_add_f64 v[4:5], v[82:83], v[86:87]
	v_add_f64 v[0:1], v[0:1], v[80:81]
	s_delay_alu instid0(VALU_DEP_2) | instskip(NEXT) | instid1(VALU_DEP_4)
	v_fma_f64 v[10:11], v[4:5], -0.5, v[2:3]
	v_fma_f64 v[4:5], v[8:9], s[0:1], v[6:7]
	v_fma_f64 v[8:9], v[8:9], s[2:3], v[6:7]
	v_add_f64 v[2:3], v[2:3], v[82:83]
	v_add_f64 v[0:1], v[0:1], v[84:85]
	v_fma_f64 v[6:7], v[12:13], s[2:3], v[10:11]
	v_fma_f64 v[10:11], v[12:13], s[0:1], v[10:11]
	ds_load_b128 v[12:15], v138 offset:8736
	v_add_f64 v[2:3], v[2:3], v[86:87]
	ds_store_b128 v138, v[24:27]
	ds_store_b128 v138, v[36:39] offset:1456
	ds_store_b128 v138, v[48:51] offset:2912
	;; [unrolled: 1-line block ×12, first 2 shown]
	s_waitcnt lgkmcnt(13)
	v_fma_f64 v[16:17], v[16:17], -0.5, v[12:13]
	v_fma_f64 v[18:19], v[18:19], -0.5, v[14:15]
	v_add_f64 v[14:15], v[14:15], v[90:91]
	v_add_f64 v[12:13], v[12:13], v[88:89]
	s_delay_alu instid0(VALU_DEP_4) | instskip(SKIP_1) | instid1(VALU_DEP_4)
	v_fma_f64 v[20:21], v[22:23], s[0:1], v[16:17]
	v_fma_f64 v[16:17], v[22:23], s[2:3], v[16:17]
	v_add_f64 v[14:15], v[14:15], v[94:95]
	s_delay_alu instid0(VALU_DEP_4) | instskip(SKIP_3) | instid1(VALU_DEP_1)
	v_add_f64 v[12:13], v[12:13], v[92:93]
	v_fma_f64 v[22:23], v[76:77], s[2:3], v[18:19]
	v_fma_f64 v[18:19], v[76:77], s[0:1], v[18:19]
	v_add_co_u32 v206, s0, 0x7000, v104
	v_add_co_ci_u32_e64 v207, s0, 0, v105, s0
	ds_store_b128 v138, v[0:3] offset:7280
	ds_store_b128 v138, v[12:15] offset:8736
	;; [unrolled: 1-line block ×8, first 2 shown]
	s_waitcnt lgkmcnt(0)
	s_waitcnt_vscnt null, 0x0
	s_barrier
	buffer_gl0_inv
	global_load_b128 v[24:27], v[206:207], off offset:1904
	ds_load_b128 v[28:31], v138
	ds_load_b128 v[46:49], v138 offset:7056
	ds_load_b128 v[64:67], v138 offset:14112
	;; [unrolled: 1-line block ×10, first 2 shown]
	s_waitcnt vmcnt(0) lgkmcnt(10)
	v_mul_f64 v[32:33], v[30:31], v[26:27]
	v_mul_f64 v[34:35], v[28:29], v[26:27]
	s_delay_alu instid0(VALU_DEP_2) | instskip(NEXT) | instid1(VALU_DEP_2)
	v_fma_f64 v[26:27], v[28:29], v[24:25], -v[32:33]
	v_fma_f64 v[28:29], v[30:31], v[24:25], v[34:35]
	v_add_co_u32 v24, s0, 0x7770, v104
	s_delay_alu instid0(VALU_DEP_1)
	v_add_co_ci_u32_e64 v25, s0, 0, v105, s0
	ds_load_b128 v[34:37], v138 offset:2352
	global_load_b128 v[30:33], v[24:25], off offset:2352
	s_waitcnt vmcnt(0) lgkmcnt(0)
	v_mul_f64 v[38:39], v[36:37], v[32:33]
	v_mul_f64 v[40:41], v[34:35], v[32:33]
	s_delay_alu instid0(VALU_DEP_2) | instskip(NEXT) | instid1(VALU_DEP_2)
	v_fma_f64 v[32:33], v[34:35], v[30:31], -v[38:39]
	v_fma_f64 v[34:35], v[36:37], v[30:31], v[40:41]
	v_add_co_u32 v30, s0, 0x8000, v104
	s_delay_alu instid0(VALU_DEP_1)
	v_add_co_ci_u32_e64 v31, s0, 0, v105, s0
	ds_load_b128 v[40:43], v138 offset:4704
	global_load_b128 v[36:39], v[30:31], off offset:2512
	s_waitcnt vmcnt(0) lgkmcnt(0)
	v_mul_f64 v[30:31], v[42:43], v[38:39]
	v_mul_f64 v[44:45], v[40:41], v[38:39]
	s_delay_alu instid0(VALU_DEP_2) | instskip(SKIP_1) | instid1(VALU_DEP_1)
	v_fma_f64 v[38:39], v[40:41], v[36:37], -v[30:31]
	v_add_co_u32 v30, s0, 0x9000, v104
	v_add_co_ci_u32_e64 v31, s0, 0, v105, s0
	s_delay_alu instid0(VALU_DEP_4) | instskip(SKIP_4) | instid1(VALU_DEP_2)
	v_fma_f64 v[40:41], v[42:43], v[36:37], v[44:45]
	global_load_b128 v[42:45], v[30:31], off offset:768
	s_waitcnt vmcnt(0)
	v_mul_f64 v[36:37], v[48:49], v[44:45]
	v_mul_f64 v[50:51], v[46:47], v[44:45]
	v_fma_f64 v[44:45], v[46:47], v[42:43], -v[36:37]
	s_delay_alu instid0(VALU_DEP_2) | instskip(SKIP_4) | instid1(VALU_DEP_2)
	v_fma_f64 v[46:47], v[48:49], v[42:43], v[50:51]
	global_load_b128 v[48:51], v[30:31], off offset:3120
	s_waitcnt vmcnt(0)
	v_mul_f64 v[30:31], v[54:55], v[50:51]
	v_mul_f64 v[36:37], v[52:53], v[50:51]
	v_fma_f64 v[50:51], v[52:53], v[48:49], -v[30:31]
	v_add_co_u32 v30, s0, 0xa000, v104
	s_delay_alu instid0(VALU_DEP_1) | instskip(NEXT) | instid1(VALU_DEP_4)
	v_add_co_ci_u32_e64 v31, s0, 0, v105, s0
	v_fma_f64 v[52:53], v[54:55], v[48:49], v[36:37]
	global_load_b128 v[54:57], v[30:31], off offset:1376
	s_waitcnt vmcnt(0)
	v_mul_f64 v[36:37], v[60:61], v[56:57]
	v_mul_f64 v[42:43], v[58:59], v[56:57]
	s_delay_alu instid0(VALU_DEP_2) | instskip(NEXT) | instid1(VALU_DEP_2)
	v_fma_f64 v[56:57], v[58:59], v[54:55], -v[36:37]
	v_fma_f64 v[58:59], v[60:61], v[54:55], v[42:43]
	global_load_b128 v[60:63], v[30:31], off offset:3728
	s_waitcnt vmcnt(0)
	v_mul_f64 v[30:31], v[66:67], v[62:63]
	v_mul_f64 v[36:37], v[64:65], v[62:63]
	s_delay_alu instid0(VALU_DEP_2) | instskip(SKIP_1) | instid1(VALU_DEP_1)
	v_fma_f64 v[62:63], v[64:65], v[60:61], -v[30:31]
	v_add_co_u32 v30, s0, 0xb000, v104
	v_add_co_ci_u32_e64 v31, s0, 0, v105, s0
	s_delay_alu instid0(VALU_DEP_4) | instskip(SKIP_4) | instid1(VALU_DEP_2)
	v_fma_f64 v[64:65], v[66:67], v[60:61], v[36:37]
	global_load_b128 v[66:69], v[30:31], off offset:1984
	s_waitcnt vmcnt(0)
	v_mul_f64 v[30:31], v[72:73], v[68:69]
	v_mul_f64 v[36:37], v[70:71], v[68:69]
	v_fma_f64 v[68:69], v[70:71], v[66:67], -v[30:31]
	v_add_co_u32 v30, s0, 0xc000, v104
	s_delay_alu instid0(VALU_DEP_1) | instskip(NEXT) | instid1(VALU_DEP_4)
	v_add_co_ci_u32_e64 v31, s0, 0, v105, s0
	v_fma_f64 v[70:71], v[72:73], v[66:67], v[36:37]
	global_load_b128 v[72:75], v[30:31], off offset:240
	s_waitcnt vmcnt(0)
	v_mul_f64 v[36:37], v[78:79], v[74:75]
	v_mul_f64 v[42:43], v[76:77], v[74:75]
	s_delay_alu instid0(VALU_DEP_2) | instskip(NEXT) | instid1(VALU_DEP_2)
	v_fma_f64 v[74:75], v[76:77], v[72:73], -v[36:37]
	v_fma_f64 v[76:77], v[78:79], v[72:73], v[42:43]
	global_load_b128 v[78:81], v[30:31], off offset:2592
	s_waitcnt vmcnt(0)
	v_mul_f64 v[30:31], v[84:85], v[80:81]
	v_mul_f64 v[36:37], v[82:83], v[80:81]
	s_delay_alu instid0(VALU_DEP_2) | instskip(SKIP_1) | instid1(VALU_DEP_1)
	v_fma_f64 v[80:81], v[82:83], v[78:79], -v[30:31]
	v_add_co_u32 v30, s0, 0xd000, v104
	v_add_co_ci_u32_e64 v31, s0, 0, v105, s0
	s_delay_alu instid0(VALU_DEP_4) | instskip(SKIP_4) | instid1(VALU_DEP_2)
	v_fma_f64 v[82:83], v[84:85], v[78:79], v[36:37]
	global_load_b128 v[84:87], v[30:31], off offset:848
	s_waitcnt vmcnt(0)
	v_mul_f64 v[36:37], v[90:91], v[86:87]
	v_mul_f64 v[42:43], v[88:89], v[86:87]
	v_fma_f64 v[86:87], v[88:89], v[84:85], -v[36:37]
	s_delay_alu instid0(VALU_DEP_2) | instskip(SKIP_4) | instid1(VALU_DEP_2)
	v_fma_f64 v[88:89], v[90:91], v[84:85], v[42:43]
	global_load_b128 v[90:93], v[30:31], off offset:3200
	s_waitcnt vmcnt(0)
	v_mul_f64 v[30:31], v[96:97], v[92:93]
	v_mul_f64 v[36:37], v[94:95], v[92:93]
	v_fma_f64 v[92:93], v[94:95], v[90:91], -v[30:31]
	v_add_co_u32 v30, s0, 0xe000, v104
	s_delay_alu instid0(VALU_DEP_1) | instskip(NEXT) | instid1(VALU_DEP_4)
	v_add_co_ci_u32_e64 v31, s0, 0, v105, s0
	v_fma_f64 v[94:95], v[96:97], v[90:91], v[36:37]
	global_load_b128 v[96:99], v[30:31], off offset:1456
	s_waitcnt vmcnt(0)
	v_mul_f64 v[30:31], v[102:103], v[98:99]
	v_mul_f64 v[36:37], v[100:101], v[98:99]
	s_delay_alu instid0(VALU_DEP_2) | instskip(NEXT) | instid1(VALU_DEP_2)
	v_fma_f64 v[98:99], v[100:101], v[96:97], -v[30:31]
	v_fma_f64 v[100:101], v[102:103], v[96:97], v[36:37]
	ds_store_b128 v138, v[26:29]
	ds_store_b128 v138, v[32:35] offset:2352
	ds_store_b128 v138, v[38:41] offset:4704
	;; [unrolled: 1-line block ×12, first 2 shown]
	s_and_saveexec_b32 s1, vcc_lo
	s_cbranch_execz .LBB0_9
; %bb.8:
	s_clause 0x1
	global_load_b128 v[26:29], v[24:25], off offset:1456
	global_load_b128 v[30:33], v[24:25], off offset:3808
	v_add_co_u32 v34, s0, 0x1000, v24
	s_delay_alu instid0(VALU_DEP_1) | instskip(SKIP_1) | instid1(VALU_DEP_1)
	v_add_co_ci_u32_e64 v35, s0, 0, v25, s0
	v_add_co_u32 v42, s0, 0x2000, v24
	v_add_co_ci_u32_e64 v43, s0, 0, v25, s0
	s_clause 0x2
	global_load_b128 v[34:37], v[34:35], off offset:2064
	global_load_b128 v[38:41], v[42:43], off offset:320
	;; [unrolled: 1-line block ×3, first 2 shown]
	v_add_co_u32 v50, s0, 0x3000, v24
	s_delay_alu instid0(VALU_DEP_1) | instskip(SKIP_4) | instid1(VALU_DEP_1)
	v_add_co_ci_u32_e64 v51, s0, 0, v25, s0
	s_clause 0x1
	global_load_b128 v[46:49], v[50:51], off offset:928
	global_load_b128 v[50:53], v[50:51], off offset:3280
	v_add_co_u32 v66, s0, 0x4000, v24
	v_add_co_ci_u32_e64 v67, s0, 0, v25, s0
	global_load_b128 v[54:57], v[66:67], off offset:1536
	ds_load_b128 v[58:61], v138 offset:1456
	ds_load_b128 v[62:65], v138 offset:3808
	;; [unrolled: 1-line block ×3, first 2 shown]
	global_load_b128 v[66:69], v[66:67], off offset:3888
	s_waitcnt vmcnt(8) lgkmcnt(2)
	v_mul_f64 v[74:75], v[60:61], v[28:29]
	v_mul_f64 v[28:29], v[58:59], v[28:29]
	s_waitcnt vmcnt(7) lgkmcnt(1)
	v_mul_f64 v[76:77], v[64:65], v[32:33]
	v_mul_f64 v[32:33], v[62:63], v[32:33]
	s_delay_alu instid0(VALU_DEP_4) | instskip(NEXT) | instid1(VALU_DEP_4)
	v_fma_f64 v[58:59], v[58:59], v[26:27], -v[74:75]
	v_fma_f64 v[60:61], v[60:61], v[26:27], v[28:29]
	ds_load_b128 v[26:29], v138 offset:8512
	s_waitcnt vmcnt(6) lgkmcnt(1)
	v_mul_f64 v[78:79], v[72:73], v[36:37]
	v_mul_f64 v[36:37], v[70:71], v[36:37]
	v_add_co_u32 v74, s0, 0x5000, v24
	s_delay_alu instid0(VALU_DEP_1)
	v_add_co_ci_u32_e64 v75, s0, 0, v25, s0
	v_fma_f64 v[62:63], v[62:63], v[30:31], -v[76:77]
	v_fma_f64 v[64:65], v[64:65], v[30:31], v[32:33]
	ds_load_b128 v[30:33], v138 offset:10864
	global_load_b128 v[74:77], v[74:75], off offset:2144
	v_fma_f64 v[70:71], v[70:71], v[34:35], -v[78:79]
	v_fma_f64 v[72:73], v[72:73], v[34:35], v[36:37]
	s_waitcnt vmcnt(6) lgkmcnt(1)
	v_mul_f64 v[34:35], v[28:29], v[40:41]
	v_mul_f64 v[36:37], v[26:27], v[40:41]
	v_add_co_u32 v78, s0, 0x6000, v24
	s_delay_alu instid0(VALU_DEP_1) | instskip(SKIP_1) | instid1(VALU_DEP_1)
	v_add_co_ci_u32_e64 v79, s0, 0, v25, s0
	v_add_co_u32 v24, s0, 0x7000, v24
	v_add_co_ci_u32_e64 v25, s0, 0, v25, s0
	v_fma_f64 v[26:27], v[26:27], v[38:39], -v[34:35]
	v_fma_f64 v[28:29], v[28:29], v[38:39], v[36:37]
	ds_load_b128 v[34:37], v138 offset:13216
	s_waitcnt vmcnt(5) lgkmcnt(1)
	v_mul_f64 v[40:41], v[32:33], v[44:45]
	v_mul_f64 v[44:45], v[30:31], v[44:45]
	s_delay_alu instid0(VALU_DEP_2)
	v_fma_f64 v[30:31], v[30:31], v[42:43], -v[40:41]
	global_load_b128 v[38:41], v[78:79], off offset:400
	v_fma_f64 v[32:33], v[32:33], v[42:43], v[44:45]
	s_waitcnt vmcnt(5) lgkmcnt(0)
	v_mul_f64 v[42:43], v[36:37], v[48:49]
	v_mul_f64 v[44:45], v[34:35], v[48:49]
	s_delay_alu instid0(VALU_DEP_2) | instskip(NEXT) | instid1(VALU_DEP_2)
	v_fma_f64 v[34:35], v[34:35], v[46:47], -v[42:43]
	v_fma_f64 v[36:37], v[36:37], v[46:47], v[44:45]
	global_load_b128 v[46:49], v[78:79], off offset:2752
	ds_load_b128 v[42:45], v138 offset:15568
	s_waitcnt vmcnt(5) lgkmcnt(0)
	v_mul_f64 v[78:79], v[44:45], v[52:53]
	v_mul_f64 v[52:53], v[42:43], v[52:53]
	s_delay_alu instid0(VALU_DEP_2) | instskip(NEXT) | instid1(VALU_DEP_2)
	v_fma_f64 v[42:43], v[42:43], v[50:51], -v[78:79]
	v_fma_f64 v[44:45], v[44:45], v[50:51], v[52:53]
	ds_load_b128 v[50:53], v138 offset:17920
	s_waitcnt vmcnt(4) lgkmcnt(0)
	v_mul_f64 v[78:79], v[52:53], v[56:57]
	v_mul_f64 v[56:57], v[50:51], v[56:57]
	s_delay_alu instid0(VALU_DEP_2) | instskip(NEXT) | instid1(VALU_DEP_2)
	v_fma_f64 v[50:51], v[50:51], v[54:55], -v[78:79]
	v_fma_f64 v[52:53], v[52:53], v[54:55], v[56:57]
	ds_load_b128 v[54:57], v138 offset:20272
	s_waitcnt vmcnt(3) lgkmcnt(0)
	v_mul_f64 v[78:79], v[56:57], v[68:69]
	v_mul_f64 v[68:69], v[54:55], v[68:69]
	s_delay_alu instid0(VALU_DEP_2) | instskip(NEXT) | instid1(VALU_DEP_2)
	v_fma_f64 v[54:55], v[54:55], v[66:67], -v[78:79]
	v_fma_f64 v[56:57], v[56:57], v[66:67], v[68:69]
	ds_load_b128 v[66:69], v138 offset:22624
	s_waitcnt vmcnt(2) lgkmcnt(0)
	v_mul_f64 v[78:79], v[68:69], v[76:77]
	v_mul_f64 v[76:77], v[66:67], v[76:77]
	s_delay_alu instid0(VALU_DEP_2) | instskip(NEXT) | instid1(VALU_DEP_2)
	v_fma_f64 v[66:67], v[66:67], v[74:75], -v[78:79]
	v_fma_f64 v[68:69], v[68:69], v[74:75], v[76:77]
	ds_load_b128 v[74:77], v138 offset:24976
	s_waitcnt vmcnt(1) lgkmcnt(0)
	v_mul_f64 v[78:79], v[76:77], v[40:41]
	v_mul_f64 v[40:41], v[74:75], v[40:41]
	s_delay_alu instid0(VALU_DEP_2) | instskip(NEXT) | instid1(VALU_DEP_2)
	v_fma_f64 v[74:75], v[74:75], v[38:39], -v[78:79]
	v_fma_f64 v[76:77], v[76:77], v[38:39], v[40:41]
	ds_load_b128 v[38:41], v138 offset:27328
	s_waitcnt vmcnt(0) lgkmcnt(0)
	v_mul_f64 v[78:79], v[40:41], v[48:49]
	v_mul_f64 v[48:49], v[38:39], v[48:49]
	s_delay_alu instid0(VALU_DEP_2) | instskip(NEXT) | instid1(VALU_DEP_2)
	v_fma_f64 v[38:39], v[38:39], v[46:47], -v[78:79]
	v_fma_f64 v[40:41], v[40:41], v[46:47], v[48:49]
	global_load_b128 v[46:49], v[24:25], off offset:1008
	ds_load_b128 v[78:81], v138 offset:29680
	s_waitcnt vmcnt(0) lgkmcnt(0)
	v_mul_f64 v[24:25], v[80:81], v[48:49]
	v_mul_f64 v[48:49], v[78:79], v[48:49]
	s_delay_alu instid0(VALU_DEP_2) | instskip(NEXT) | instid1(VALU_DEP_2)
	v_fma_f64 v[78:79], v[78:79], v[46:47], -v[24:25]
	v_fma_f64 v[80:81], v[80:81], v[46:47], v[48:49]
	ds_store_b128 v138, v[58:61] offset:1456
	ds_store_b128 v138, v[62:65] offset:3808
	;; [unrolled: 1-line block ×13, first 2 shown]
.LBB0_9:
	s_or_b32 exec_lo, exec_lo, s1
	s_waitcnt lgkmcnt(0)
	s_barrier
	buffer_gl0_inv
	ds_load_b128 v[24:27], v138
	ds_load_b128 v[28:31], v138 offset:2352
	ds_load_b128 v[32:35], v138 offset:4704
	;; [unrolled: 1-line block ×12, first 2 shown]
	s_and_saveexec_b32 s0, vcc_lo
	s_cbranch_execz .LBB0_11
; %bb.10:
	ds_load_b128 v[248:251], v138 offset:1456
	ds_load_b128 v[252:255], v138 offset:3808
	;; [unrolled: 1-line block ×9, first 2 shown]
	s_waitcnt lgkmcnt(0)
	scratch_store_b128 off, v[76:79], off offset:68 ; 16-byte Folded Spill
	ds_load_b128 v[76:79], v138 offset:22624
	s_waitcnt lgkmcnt(0)
	scratch_store_b128 off, v[76:79], off offset:52 ; 16-byte Folded Spill
	ds_load_b128 v[76:79], v138 offset:24976
	;; [unrolled: 3-line block ×4, first 2 shown]
	s_waitcnt lgkmcnt(0)
	scratch_store_b128 off, v[76:79], off offset:4 ; 16-byte Folded Spill
.LBB0_11:
	s_or_b32 exec_lo, exec_lo, s0
	s_waitcnt lgkmcnt(11)
	v_add_f64 v[76:77], v[24:25], v[28:29]
	v_add_f64 v[78:79], v[26:27], v[30:31]
	s_waitcnt lgkmcnt(5)
	v_add_f64 v[84:85], v[74:75], v[70:71]
	v_add_f64 v[106:107], v[72:73], v[68:69]
	s_waitcnt lgkmcnt(3)
	v_add_f64 v[86:87], v[54:55], v[58:59]
	v_add_f64 v[88:89], v[54:55], -v[58:59]
	s_waitcnt lgkmcnt(2)
	v_add_f64 v[90:91], v[42:43], v[50:51]
	v_add_f64 v[92:93], v[42:43], -v[50:51]
	;; [unrolled: 3-line block ×3, first 2 shown]
	s_mov_b32 s16, 0x42a4c3d2
	s_mov_b32 s17, 0xbfea55e2
	;; [unrolled: 1-line block ×28, first 2 shown]
	v_add_f64 v[76:77], v[76:77], v[32:33]
	v_add_f64 v[78:79], v[78:79], v[34:35]
	s_mov_b32 s37, 0x3fe5384d
	s_mov_b32 s41, 0x3fcea1e5
	;; [unrolled: 1-line block ×7, first 2 shown]
	v_mul_f64 v[154:155], v[84:85], s[2:3]
	v_mul_f64 v[176:177], v[100:101], s[12:13]
	;; [unrolled: 1-line block ×10, first 2 shown]
	s_waitcnt lgkmcnt(0)
	s_waitcnt_vscnt null, 0x0
	s_barrier
	buffer_gl0_inv
	v_add_f64 v[76:77], v[76:77], v[40:41]
	v_add_f64 v[78:79], v[78:79], v[42:43]
	;; [unrolled: 1-line block ×3, first 2 shown]
	v_add_f64 v[32:33], v[32:33], -v[44:45]
	s_delay_alu instid0(VALU_DEP_4) | instskip(NEXT) | instid1(VALU_DEP_4)
	v_add_f64 v[76:77], v[76:77], v[52:53]
	v_add_f64 v[78:79], v[78:79], v[54:55]
	v_add_f64 v[54:55], v[40:41], v[48:49]
	v_add_f64 v[40:41], v[40:41], -v[48:49]
	s_delay_alu instid0(VALU_DEP_4) | instskip(NEXT) | instid1(VALU_DEP_4)
	v_add_f64 v[76:77], v[76:77], v[60:61]
	v_add_f64 v[78:79], v[78:79], v[62:63]
	s_delay_alu instid0(VALU_DEP_2) | instskip(NEXT) | instid1(VALU_DEP_2)
	v_add_f64 v[80:81], v[76:77], v[72:73]
	v_add_f64 v[82:83], v[78:79], v[74:75]
	v_add_f64 v[74:75], v[74:75], -v[70:71]
	v_add_f64 v[72:73], v[72:73], -v[68:69]
	s_delay_alu instid0(VALU_DEP_4) | instskip(NEXT) | instid1(VALU_DEP_4)
	v_add_f64 v[76:77], v[80:81], v[68:69]
	v_add_f64 v[70:71], v[82:83], v[70:71]
	;; [unrolled: 1-line block ×4, first 2 shown]
	v_add_f64 v[60:61], v[60:61], -v[64:65]
	v_add_f64 v[82:83], v[62:63], -v[66:67]
	v_add_f64 v[62:63], v[52:53], v[56:57]
	v_add_f64 v[52:53], v[52:53], -v[56:57]
	v_mul_f64 v[192:193], v[74:75], s[28:29]
	v_mul_f64 v[202:203], v[74:75], s[8:9]
	v_add_f64 v[64:65], v[76:77], v[64:65]
	v_add_f64 v[66:67], v[70:71], v[66:67]
	v_mul_f64 v[190:191], v[80:81], s[24:25]
	v_mul_f64 v[200:201], v[80:81], s[22:23]
	;; [unrolled: 1-line block ×4, first 2 shown]
	v_add_f64 v[56:57], v[64:65], v[56:57]
	v_add_f64 v[58:59], v[66:67], v[58:59]
	s_delay_alu instid0(VALU_DEP_2) | instskip(NEXT) | instid1(VALU_DEP_2)
	v_add_f64 v[48:49], v[56:57], v[48:49]
	v_add_f64 v[50:51], v[58:59], v[50:51]
	v_add_f64 v[56:57], v[28:29], -v[36:37]
	s_delay_alu instid0(VALU_DEP_3) | instskip(NEXT) | instid1(VALU_DEP_3)
	v_add_f64 v[34:35], v[48:49], v[44:45]
	v_add_f64 v[44:45], v[50:51], v[46:47]
	v_add_f64 v[46:47], v[30:31], -v[38:39]
	v_add_f64 v[48:49], v[28:29], v[36:37]
	v_add_f64 v[50:51], v[30:31], v[38:39]
	;; [unrolled: 1-line block ×4, first 2 shown]
	v_mul_f64 v[36:37], v[46:47], s[16:17]
	v_mul_f64 v[38:39], v[46:47], s[18:19]
	;; [unrolled: 1-line block ×7, first 2 shown]
	v_fma_f64 v[66:67], v[48:49], s[22:23], v[36:37]
	v_fma_f64 v[70:71], v[48:49], s[22:23], -v[36:37]
	v_mul_f64 v[36:37], v[50:51], s[26:27]
	v_fma_f64 v[76:77], v[48:49], s[24:25], v[38:39]
	v_fma_f64 v[78:79], v[48:49], s[24:25], -v[38:39]
	v_fma_f64 v[102:103], v[48:49], s[14:15], v[58:59]
	v_fma_f64 v[58:59], v[48:49], s[14:15], -v[58:59]
	v_mul_f64 v[38:39], v[50:51], s[22:23]
	v_fma_f64 v[64:65], v[48:49], s[26:27], v[34:35]
	v_fma_f64 v[34:35], v[48:49], s[26:27], -v[34:35]
	v_fma_f64 v[96:97], v[48:49], s[20:21], v[44:45]
	v_fma_f64 v[98:99], v[48:49], s[20:21], -v[44:45]
	;; [unrolled: 2-line block ×3, first 2 shown]
	v_mul_f64 v[44:45], v[50:51], s[24:25]
	v_mul_f64 v[48:49], v[50:51], s[20:21]
	v_mul_f64 v[50:51], v[50:51], s[2:3]
	v_fma_f64 v[124:125], v[56:57], s[36:37], v[108:109]
	v_fma_f64 v[108:109], v[56:57], s[8:9], v[108:109]
	v_add_f64 v[130:131], v[24:25], v[66:67]
	v_mul_f64 v[66:67], v[92:93], s[18:19]
	v_fma_f64 v[110:111], v[56:57], s[28:29], v[36:37]
	v_fma_f64 v[36:37], v[56:57], s[42:43], v[36:37]
	v_add_f64 v[134:135], v[24:25], v[76:77]
	v_add_f64 v[136:137], v[24:25], v[78:79]
	v_fma_f64 v[114:115], v[56:57], s[16:17], v[38:39]
	v_fma_f64 v[112:113], v[56:57], s[38:39], v[38:39]
	v_add_f64 v[34:35], v[24:25], v[34:35]
	v_add_f64 v[38:39], v[24:25], v[70:71]
	;; [unrolled: 1-line block ×5, first 2 shown]
	v_fma_f64 v[118:119], v[56:57], s[34:35], v[44:45]
	v_fma_f64 v[120:121], v[56:57], s[18:19], v[44:45]
	;; [unrolled: 1-line block ×6, first 2 shown]
	v_add_f64 v[56:57], v[24:25], v[64:65]
	v_add_f64 v[98:99], v[24:25], v[46:47]
	v_mul_f64 v[64:65], v[94:95], s[22:23]
	v_add_f64 v[108:109], v[26:27], v[108:109]
	v_mul_f64 v[70:71], v[90:91], s[24:25]
	v_fma_f64 v[46:47], v[54:55], s[24:25], v[66:67]
	v_add_f64 v[128:129], v[26:27], v[110:111]
	v_add_f64 v[110:111], v[24:25], v[58:59]
	v_mul_f64 v[58:59], v[100:101], s[16:17]
	v_add_f64 v[36:37], v[26:27], v[36:37]
	v_fma_f64 v[66:67], v[54:55], s[24:25], -v[66:67]
	v_add_f64 v[44:45], v[26:27], v[114:115]
	v_add_f64 v[114:115], v[24:25], v[102:103]
	;; [unrolled: 1-line block ×10, first 2 shown]
	v_mul_f64 v[50:51], v[88:89], s[12:13]
	v_fma_f64 v[120:121], v[32:33], s[30:31], v[178:179]
	v_fma_f64 v[26:27], v[32:33], s[38:39], v[64:65]
	;; [unrolled: 1-line block ×5, first 2 shown]
	v_fma_f64 v[58:59], v[42:43], s[22:23], -v[58:59]
	v_add_f64 v[120:121], v[120:121], v[132:133]
	v_add_f64 v[26:27], v[26:27], v[128:129]
	v_mul_f64 v[128:129], v[94:95], s[2:3]
	v_mul_f64 v[132:133], v[90:91], s[20:21]
	v_add_f64 v[36:37], v[64:65], v[36:37]
	v_add_f64 v[24:25], v[24:25], v[56:57]
	v_mul_f64 v[56:57], v[86:87], s[20:21]
	v_add_f64 v[34:35], v[58:59], v[34:35]
	v_fma_f64 v[126:127], v[32:33], s[40:41], v[128:129]
	s_delay_alu instid0(VALU_DEP_4) | instskip(SKIP_4) | instid1(VALU_DEP_4)
	v_add_f64 v[24:25], v[46:47], v[24:25]
	v_fma_f64 v[46:47], v[40:41], s[34:35], v[70:71]
	v_fma_f64 v[70:71], v[40:41], s[18:19], v[70:71]
	v_add_f64 v[34:35], v[66:67], v[34:35]
	v_add_f64 v[118:119], v[126:127], v[118:119]
	v_add_f64 v[26:27], v[46:47], v[26:27]
	v_fma_f64 v[46:47], v[62:63], s[20:21], v[50:51]
	v_add_f64 v[36:37], v[70:71], v[36:37]
	s_delay_alu instid0(VALU_DEP_2) | instskip(SKIP_1) | instid1(VALU_DEP_1)
	v_add_f64 v[24:25], v[46:47], v[24:25]
	v_fma_f64 v[46:47], v[52:53], s[30:31], v[56:57]
	v_add_f64 v[26:27], v[46:47], v[26:27]
	v_mul_f64 v[46:47], v[82:83], s[8:9]
	s_delay_alu instid0(VALU_DEP_1) | instskip(NEXT) | instid1(VALU_DEP_1)
	v_fma_f64 v[48:49], v[68:69], s[14:15], v[46:47]
	v_add_f64 v[24:25], v[48:49], v[24:25]
	v_mul_f64 v[48:49], v[80:81], s[14:15]
	s_delay_alu instid0(VALU_DEP_1) | instskip(NEXT) | instid1(VALU_DEP_1)
	;; [unrolled: 4-line block ×3, first 2 shown]
	v_fma_f64 v[116:117], v[106:107], s[2:3], v[102:103]
	v_add_f64 v[24:25], v[116:117], v[24:25]
	v_fma_f64 v[116:117], v[72:73], s[40:41], v[154:155]
	s_delay_alu instid0(VALU_DEP_1) | instskip(SKIP_1) | instid1(VALU_DEP_1)
	v_add_f64 v[26:27], v[116:117], v[26:27]
	v_fma_f64 v[116:117], v[42:43], s[20:21], v[176:177]
	v_add_f64 v[116:117], v[116:117], v[130:131]
	v_mul_f64 v[130:131], v[92:93], s[30:31]
	s_delay_alu instid0(VALU_DEP_2) | instskip(SKIP_1) | instid1(VALU_DEP_3)
	v_add_f64 v[116:117], v[122:123], v[116:117]
	v_fma_f64 v[122:123], v[40:41], s[40:41], v[182:183]
	v_fma_f64 v[126:127], v[54:55], s[20:21], v[130:131]
	s_delay_alu instid0(VALU_DEP_2) | instskip(SKIP_1) | instid1(VALU_DEP_1)
	v_add_f64 v[120:121], v[122:123], v[120:121]
	v_fma_f64 v[122:123], v[62:63], s[14:15], v[184:185]
	v_add_f64 v[116:117], v[122:123], v[116:117]
	v_fma_f64 v[122:123], v[52:53], s[8:9], v[186:187]
	s_delay_alu instid0(VALU_DEP_1) | instskip(SKIP_1) | instid1(VALU_DEP_1)
	v_add_f64 v[120:121], v[122:123], v[120:121]
	v_fma_f64 v[122:123], v[68:69], s[24:25], v[188:189]
	v_add_f64 v[116:117], v[122:123], v[116:117]
	v_fma_f64 v[122:123], v[60:61], s[18:19], v[190:191]
	s_delay_alu instid0(VALU_DEP_1) | instskip(SKIP_1) | instid1(VALU_DEP_1)
	;; [unrolled: 5-line block ×3, first 2 shown]
	v_add_f64 v[122:123], v[116:117], v[122:123]
	v_mul_f64 v[116:117], v[100:101], s[0:1]
	v_fma_f64 v[124:125], v[42:43], s[2:3], v[116:117]
	v_fma_f64 v[116:117], v[42:43], s[2:3], -v[116:117]
	s_delay_alu instid0(VALU_DEP_2) | instskip(SKIP_1) | instid1(VALU_DEP_3)
	v_add_f64 v[124:125], v[124:125], v[134:135]
	v_mul_f64 v[134:135], v[88:89], s[28:29]
	v_add_f64 v[116:117], v[116:117], v[136:137]
	v_mul_f64 v[136:137], v[94:95], s[14:15]
	s_delay_alu instid0(VALU_DEP_4) | instskip(SKIP_1) | instid1(VALU_DEP_1)
	v_add_f64 v[124:125], v[126:127], v[124:125]
	v_fma_f64 v[126:127], v[40:41], s[12:13], v[132:133]
	v_add_f64 v[118:119], v[126:127], v[118:119]
	v_fma_f64 v[126:127], v[62:63], s[26:27], v[134:135]
	s_delay_alu instid0(VALU_DEP_1) | instskip(SKIP_1) | instid1(VALU_DEP_1)
	v_add_f64 v[124:125], v[126:127], v[124:125]
	v_fma_f64 v[126:127], v[52:53], s[42:43], v[196:197]
	v_add_f64 v[118:119], v[126:127], v[118:119]
	v_fma_f64 v[126:127], v[68:69], s[22:23], v[198:199]
	s_delay_alu instid0(VALU_DEP_1) | instskip(SKIP_1) | instid1(VALU_DEP_1)
	;; [unrolled: 5-line block ×3, first 2 shown]
	v_add_f64 v[124:125], v[126:127], v[124:125]
	v_fma_f64 v[126:127], v[72:73], s[36:37], v[204:205]
	v_add_f64 v[126:127], v[126:127], v[118:119]
	v_fma_f64 v[118:119], v[32:33], s[0:1], v[128:129]
	v_fma_f64 v[128:129], v[54:55], s[20:21], -v[130:131]
	v_fma_f64 v[130:131], v[72:73], s[8:9], v[204:205]
	s_delay_alu instid0(VALU_DEP_3) | instskip(NEXT) | instid1(VALU_DEP_3)
	v_add_f64 v[118:119], v[118:119], v[140:141]
	v_add_f64 v[116:117], v[128:129], v[116:117]
	v_fma_f64 v[128:129], v[40:41], s[30:31], v[132:133]
	v_mul_f64 v[140:141], v[92:93], s[28:29]
	v_fma_f64 v[132:133], v[32:33], s[8:9], v[136:137]
	v_fma_f64 v[136:137], v[32:33], s[36:37], v[136:137]
	s_delay_alu instid0(VALU_DEP_4)
	v_add_f64 v[118:119], v[128:129], v[118:119]
	v_fma_f64 v[128:129], v[62:63], s[26:27], -v[134:135]
	v_fma_f64 v[134:135], v[54:55], s[26:27], v[140:141]
	v_add_f64 v[132:133], v[132:133], v[148:149]
	v_mul_f64 v[148:149], v[88:89], s[18:19]
	v_fma_f64 v[140:141], v[54:55], s[26:27], -v[140:141]
	v_add_f64 v[136:137], v[136:137], v[152:153]
	v_add_f64 v[116:117], v[128:129], v[116:117]
	v_fma_f64 v[128:129], v[52:53], s[28:29], v[196:197]
	v_mul_f64 v[196:197], v[86:87], s[24:25]
	s_delay_alu instid0(VALU_DEP_2) | instskip(SKIP_2) | instid1(VALU_DEP_2)
	v_add_f64 v[118:119], v[128:129], v[118:119]
	v_fma_f64 v[128:129], v[68:69], s[22:23], -v[198:199]
	v_mul_f64 v[198:199], v[82:83], s[40:41]
	v_add_f64 v[116:117], v[128:129], v[116:117]
	v_fma_f64 v[128:129], v[60:61], s[16:17], v[200:201]
	v_mul_f64 v[200:201], v[80:81], s[2:3]
	s_delay_alu instid0(VALU_DEP_2) | instskip(SKIP_2) | instid1(VALU_DEP_3)
	v_add_f64 v[118:119], v[128:129], v[118:119]
	v_fma_f64 v[128:129], v[106:107], s[14:15], -v[202:203]
	v_mul_f64 v[202:203], v[74:75], s[38:39]
	v_add_f64 v[130:131], v[130:131], v[118:119]
	s_delay_alu instid0(VALU_DEP_3) | instskip(SKIP_1) | instid1(VALU_DEP_1)
	v_add_f64 v[128:129], v[128:129], v[116:117]
	v_mul_f64 v[116:117], v[100:101], s[36:37]
	v_fma_f64 v[118:119], v[42:43], s[14:15], v[116:117]
	v_fma_f64 v[116:117], v[42:43], s[14:15], -v[116:117]
	s_delay_alu instid0(VALU_DEP_2) | instskip(SKIP_1) | instid1(VALU_DEP_3)
	v_add_f64 v[118:119], v[118:119], v[142:143]
	v_mul_f64 v[142:143], v[90:91], s[26:27]
	v_add_f64 v[116:117], v[116:117], v[150:151]
	s_delay_alu instid0(VALU_DEP_3) | instskip(NEXT) | instid1(VALU_DEP_3)
	v_add_f64 v[118:119], v[134:135], v[118:119]
	v_fma_f64 v[134:135], v[40:41], s[42:43], v[142:143]
	s_delay_alu instid0(VALU_DEP_3) | instskip(SKIP_1) | instid1(VALU_DEP_3)
	v_add_f64 v[116:117], v[140:141], v[116:117]
	v_fma_f64 v[140:141], v[40:41], s[28:29], v[142:143]
	v_add_f64 v[132:133], v[134:135], v[132:133]
	v_fma_f64 v[134:135], v[62:63], s[24:25], v[148:149]
	s_delay_alu instid0(VALU_DEP_3) | instskip(SKIP_1) | instid1(VALU_DEP_3)
	v_add_f64 v[136:137], v[140:141], v[136:137]
	v_fma_f64 v[140:141], v[62:63], s[24:25], -v[148:149]
	v_add_f64 v[118:119], v[134:135], v[118:119]
	v_fma_f64 v[134:135], v[52:53], s[34:35], v[196:197]
	s_delay_alu instid0(VALU_DEP_3) | instskip(SKIP_1) | instid1(VALU_DEP_3)
	v_add_f64 v[116:117], v[140:141], v[116:117]
	v_fma_f64 v[140:141], v[52:53], s[18:19], v[196:197]
	v_add_f64 v[132:133], v[134:135], v[132:133]
	v_fma_f64 v[134:135], v[68:69], s[2:3], v[198:199]
	s_delay_alu instid0(VALU_DEP_3) | instskip(SKIP_1) | instid1(VALU_DEP_3)
	v_add_f64 v[136:137], v[140:141], v[136:137]
	v_fma_f64 v[140:141], v[68:69], s[2:3], -v[198:199]
	v_add_f64 v[118:119], v[134:135], v[118:119]
	v_fma_f64 v[134:135], v[60:61], s[0:1], v[200:201]
	s_delay_alu instid0(VALU_DEP_3) | instskip(SKIP_1) | instid1(VALU_DEP_3)
	v_add_f64 v[116:117], v[140:141], v[116:117]
	v_fma_f64 v[140:141], v[60:61], s[40:41], v[200:201]
	v_add_f64 v[134:135], v[134:135], v[132:133]
	v_fma_f64 v[132:133], v[106:107], s[22:23], v[202:203]
	s_delay_alu instid0(VALU_DEP_3) | instskip(SKIP_2) | instid1(VALU_DEP_4)
	v_add_f64 v[136:137], v[140:141], v[136:137]
	v_fma_f64 v[140:141], v[106:107], s[22:23], -v[202:203]
	v_mul_f64 v[202:203], v[74:75], s[12:13]
	v_add_f64 v[132:133], v[132:133], v[118:119]
	v_mul_f64 v[118:119], v[84:85], s[22:23]
	s_delay_alu instid0(VALU_DEP_4) | instskip(NEXT) | instid1(VALU_DEP_2)
	v_add_f64 v[116:117], v[140:141], v[116:117]
	v_fma_f64 v[204:205], v[72:73], s[16:17], v[118:119]
	v_fma_f64 v[118:119], v[72:73], s[38:39], v[118:119]
	s_delay_alu instid0(VALU_DEP_2) | instskip(NEXT) | instid1(VALU_DEP_2)
	v_add_f64 v[134:135], v[204:205], v[134:135]
	v_add_f64 v[118:119], v[118:119], v[136:137]
	v_mul_f64 v[136:137], v[100:101], s[34:35]
	v_mul_f64 v[204:205], v[84:85], s[20:21]
	;; [unrolled: 1-line block ×4, first 2 shown]
	s_delay_alu instid0(VALU_DEP_4) | instskip(SKIP_1) | instid1(VALU_DEP_2)
	v_fma_f64 v[140:141], v[42:43], s[24:25], v[136:137]
	v_fma_f64 v[136:137], v[42:43], s[24:25], -v[136:137]
	v_add_f64 v[114:115], v[140:141], v[114:115]
	v_mul_f64 v[140:141], v[94:95], s[24:25]
	s_delay_alu instid0(VALU_DEP_3) | instskip(SKIP_1) | instid1(VALU_DEP_3)
	v_add_f64 v[110:111], v[136:137], v[110:111]
	v_mul_f64 v[94:95], v[94:95], s[26:27]
	v_fma_f64 v[142:143], v[32:33], s[18:19], v[140:141]
	v_fma_f64 v[136:137], v[32:33], s[34:35], v[140:141]
	;; [unrolled: 1-line block ×3, first 2 shown]
	s_delay_alu instid0(VALU_DEP_3) | instskip(SKIP_1) | instid1(VALU_DEP_4)
	v_add_f64 v[112:113], v[142:143], v[112:113]
	v_mul_f64 v[142:143], v[92:93], s[16:17]
	v_add_f64 v[108:109], v[136:137], v[108:109]
	v_mul_f64 v[92:93], v[92:93], s[8:9]
	s_delay_alu instid0(VALU_DEP_3) | instskip(SKIP_1) | instid1(VALU_DEP_2)
	v_fma_f64 v[148:149], v[54:55], s[22:23], v[142:143]
	v_fma_f64 v[136:137], v[54:55], s[22:23], -v[142:143]
	v_add_f64 v[114:115], v[148:149], v[114:115]
	v_mul_f64 v[148:149], v[90:91], s[22:23]
	s_delay_alu instid0(VALU_DEP_3) | instskip(SKIP_1) | instid1(VALU_DEP_3)
	v_add_f64 v[110:111], v[136:137], v[110:111]
	v_mul_f64 v[90:91], v[90:91], s[14:15]
	v_fma_f64 v[150:151], v[40:41], s[38:39], v[148:149]
	v_fma_f64 v[136:137], v[40:41], s[16:17], v[148:149]
	s_delay_alu instid0(VALU_DEP_2) | instskip(SKIP_1) | instid1(VALU_DEP_3)
	v_add_f64 v[112:113], v[150:151], v[112:113]
	v_mul_f64 v[150:151], v[88:89], s[40:41]
	v_add_f64 v[108:109], v[136:137], v[108:109]
	v_mul_f64 v[88:89], v[88:89], s[38:39]
	s_delay_alu instid0(VALU_DEP_3) | instskip(SKIP_1) | instid1(VALU_DEP_2)
	v_fma_f64 v[152:153], v[62:63], s[2:3], v[150:151]
	v_fma_f64 v[136:137], v[62:63], s[2:3], -v[150:151]
	v_add_f64 v[114:115], v[152:153], v[114:115]
	v_mul_f64 v[152:153], v[86:87], s[2:3]
	s_delay_alu instid0(VALU_DEP_3) | instskip(SKIP_1) | instid1(VALU_DEP_3)
	v_add_f64 v[110:111], v[136:137], v[110:111]
	v_mul_f64 v[86:87], v[86:87], s[22:23]
	v_fma_f64 v[196:197], v[52:53], s[0:1], v[152:153]
	v_fma_f64 v[136:137], v[52:53], s[40:41], v[152:153]
	s_delay_alu instid0(VALU_DEP_2) | instskip(SKIP_1) | instid1(VALU_DEP_3)
	v_add_f64 v[112:113], v[196:197], v[112:113]
	v_mul_f64 v[196:197], v[82:83], s[28:29]
	v_add_f64 v[108:109], v[136:137], v[108:109]
	v_mul_f64 v[82:83], v[82:83], s[12:13]
	s_delay_alu instid0(VALU_DEP_3) | instskip(SKIP_1) | instid1(VALU_DEP_2)
	v_fma_f64 v[198:199], v[68:69], s[26:27], v[196:197]
	v_fma_f64 v[136:137], v[68:69], s[26:27], -v[196:197]
	v_add_f64 v[114:115], v[198:199], v[114:115]
	v_mul_f64 v[198:199], v[80:81], s[26:27]
	s_delay_alu instid0(VALU_DEP_3) | instskip(SKIP_1) | instid1(VALU_DEP_3)
	v_add_f64 v[110:111], v[136:137], v[110:111]
	v_mul_f64 v[80:81], v[80:81], s[20:21]
	v_fma_f64 v[136:137], v[60:61], s[28:29], v[198:199]
	v_fma_f64 v[200:201], v[60:61], s[42:43], v[198:199]
	s_delay_alu instid0(VALU_DEP_2) | instskip(SKIP_1) | instid1(VALU_DEP_3)
	v_add_f64 v[136:137], v[136:137], v[108:109]
	v_fma_f64 v[108:109], v[106:107], s[20:21], -v[202:203]
	v_add_f64 v[200:201], v[200:201], v[112:113]
	v_fma_f64 v[112:113], v[106:107], s[20:21], v[202:203]
	s_delay_alu instid0(VALU_DEP_3) | instskip(SKIP_2) | instid1(VALU_DEP_4)
	v_add_f64 v[108:109], v[108:109], v[110:111]
	v_add_f64 v[110:111], v[140:141], v[136:137]
	v_fma_f64 v[136:137], v[42:43], s[26:27], v[100:101]
	v_add_f64 v[112:113], v[112:113], v[114:115]
	v_fma_f64 v[114:115], v[72:73], s[30:31], v[204:205]
	s_delay_alu instid0(VALU_DEP_3) | instskip(SKIP_4) | instid1(VALU_DEP_4)
	v_add_f64 v[78:79], v[136:137], v[78:79]
	v_fma_f64 v[136:137], v[32:33], s[42:43], v[94:95]
	v_fma_f64 v[94:95], v[32:33], s[28:29], v[94:95]
	;; [unrolled: 1-line block ×3, first 2 shown]
	v_add_f64 v[114:115], v[114:115], v[200:201]
	v_add_f64 v[76:77], v[136:137], v[76:77]
	v_fma_f64 v[136:137], v[54:55], s[14:15], v[92:93]
	v_add_f64 v[94:95], v[94:95], v[96:97]
	v_fma_f64 v[92:93], v[54:55], s[14:15], -v[92:93]
	v_fma_f64 v[54:55], v[54:55], s[2:3], -v[180:181]
	v_add_f64 v[32:33], v[32:33], v[44:45]
	v_fma_f64 v[44:45], v[52:53], s[12:13], v[56:57]
	v_add_f64 v[78:79], v[136:137], v[78:79]
	v_fma_f64 v[136:137], v[40:41], s[36:37], v[90:91]
	v_fma_f64 v[90:91], v[40:41], s[8:9], v[90:91]
	;; [unrolled: 1-line block ×3, first 2 shown]
	v_add_f64 v[36:37], v[44:45], v[36:37]
	v_fma_f64 v[44:45], v[60:61], s[8:9], v[48:49]
	v_add_f64 v[76:77], v[136:137], v[76:77]
	v_fma_f64 v[136:137], v[62:63], s[22:23], v[88:89]
	v_add_f64 v[90:91], v[90:91], v[94:95]
	v_fma_f64 v[88:89], v[62:63], s[22:23], -v[88:89]
	v_add_f64 v[32:33], v[40:41], v[32:33]
	v_fma_f64 v[40:41], v[62:63], s[20:21], -v[50:51]
	v_fma_f64 v[50:51], v[52:53], s[36:37], v[186:187]
	v_add_f64 v[78:79], v[136:137], v[78:79]
	v_fma_f64 v[136:137], v[52:53], s[16:17], v[86:87]
	v_fma_f64 v[86:87], v[52:53], s[38:39], v[86:87]
	v_add_f64 v[34:35], v[40:41], v[34:35]
	v_add_f64 v[32:33], v[50:51], v[32:33]
	v_fma_f64 v[40:41], v[68:69], s[14:15], -v[46:47]
	v_fma_f64 v[46:47], v[60:61], s[34:35], v[190:191]
	v_add_f64 v[76:77], v[136:137], v[76:77]
	v_fma_f64 v[136:137], v[68:69], s[20:21], v[82:83]
	v_add_f64 v[86:87], v[86:87], v[90:91]
	v_fma_f64 v[82:83], v[68:69], s[20:21], -v[82:83]
	v_add_f64 v[34:35], v[40:41], v[34:35]
	v_add_f64 v[40:41], v[44:45], v[36:37]
	v_fma_f64 v[44:45], v[72:73], s[28:29], v[194:195]
	v_add_f64 v[78:79], v[136:137], v[78:79]
	v_fma_f64 v[136:137], v[60:61], s[30:31], v[80:81]
	v_fma_f64 v[80:81], v[60:61], s[12:13], v[80:81]
	s_delay_alu instid0(VALU_DEP_2) | instskip(SKIP_1) | instid1(VALU_DEP_3)
	v_add_f64 v[76:77], v[136:137], v[76:77]
	v_mul_f64 v[136:137], v[74:75], s[34:35]
	v_add_f64 v[80:81], v[80:81], v[86:87]
	s_delay_alu instid0(VALU_DEP_2) | instskip(NEXT) | instid1(VALU_DEP_1)
	v_fma_f64 v[74:75], v[106:107], s[24:25], v[136:137]
	v_add_f64 v[74:75], v[74:75], v[78:79]
	v_fma_f64 v[78:79], v[72:73], s[18:19], v[84:85]
	v_fma_f64 v[84:85], v[72:73], s[34:35], v[84:85]
	s_delay_alu instid0(VALU_DEP_2) | instskip(SKIP_2) | instid1(VALU_DEP_4)
	v_add_f64 v[76:77], v[78:79], v[76:77]
	v_fma_f64 v[78:79], v[42:43], s[26:27], -v[100:101]
	v_fma_f64 v[42:43], v[42:43], s[20:21], -v[176:177]
	v_add_f64 v[80:81], v[84:85], v[80:81]
	s_delay_alu instid0(VALU_DEP_3) | instskip(NEXT) | instid1(VALU_DEP_3)
	v_add_f64 v[78:79], v[78:79], v[98:99]
	v_add_f64 v[38:39], v[42:43], v[38:39]
	v_fma_f64 v[42:43], v[62:63], s[14:15], -v[184:185]
	s_delay_alu instid0(VALU_DEP_3) | instskip(NEXT) | instid1(VALU_DEP_3)
	v_add_f64 v[78:79], v[92:93], v[78:79]
	v_add_f64 v[38:39], v[54:55], v[38:39]
	s_delay_alu instid0(VALU_DEP_2) | instskip(NEXT) | instid1(VALU_DEP_2)
	v_add_f64 v[78:79], v[88:89], v[78:79]
	v_add_f64 v[38:39], v[42:43], v[38:39]
	v_fma_f64 v[42:43], v[68:69], s[24:25], -v[188:189]
	s_delay_alu instid0(VALU_DEP_3) | instskip(SKIP_1) | instid1(VALU_DEP_3)
	v_add_f64 v[78:79], v[82:83], v[78:79]
	v_fma_f64 v[82:83], v[106:107], s[24:25], -v[136:137]
	v_add_f64 v[36:37], v[42:43], v[38:39]
	v_add_f64 v[38:39], v[46:47], v[32:33]
	v_fma_f64 v[42:43], v[106:107], s[26:27], -v[192:193]
	v_fma_f64 v[32:33], v[106:107], s[2:3], -v[102:103]
	v_fma_f64 v[46:47], v[72:73], s[0:1], v[154:155]
	v_add_f64 v[78:79], v[82:83], v[78:79]
	v_add_f64 v[38:39], v[44:45], v[38:39]
	;; [unrolled: 1-line block ×5, first 2 shown]
	ds_store_b128 v139, v[24:27] offset:16
	ds_store_b128 v139, v[120:123] offset:32
	;; [unrolled: 1-line block ×9, first 2 shown]
	ds_store_b128 v139, v[28:31]
	ds_store_b128 v139, v[128:131] offset:160
	ds_store_b128 v139, v[36:39] offset:176
	;; [unrolled: 1-line block ×3, first 2 shown]
	s_and_saveexec_b32 s33, vcc_lo
	s_cbranch_execz .LBB0_13
; %bb.12:
	scratch_load_b128 v[32:35], off, off offset:68 ; 16-byte Folded Reload
	v_add_f64 v[24:25], v[250:251], v[254:255]
	v_add_f64 v[26:27], v[248:249], v[252:253]
	s_delay_alu instid0(VALU_DEP_2) | instskip(NEXT) | instid1(VALU_DEP_2)
	v_add_f64 v[24:25], v[24:25], v[2:3]
	v_add_f64 v[26:27], v[26:27], v[0:1]
	s_delay_alu instid0(VALU_DEP_2) | instskip(NEXT) | instid1(VALU_DEP_2)
	;; [unrolled: 3-line block ×5, first 2 shown]
	v_add_f64 v[28:29], v[24:25], v[22:23]
	v_add_f64 v[30:31], v[26:27], v[20:21]
	v_add_f64 v[26:27], v[20:21], -v[16:17]
	v_add_f64 v[24:25], v[22:23], -v[18:19]
	v_add_f64 v[22:23], v[22:23], v[18:19]
	v_add_f64 v[20:21], v[20:21], v[16:17]
	v_add_f64 v[28:29], v[28:29], v[18:19]
	v_add_f64 v[30:31], v[30:31], v[16:17]
	v_mul_f64 v[112:113], v[26:27], s[34:35]
	v_mul_f64 v[114:115], v[24:25], s[34:35]
	;; [unrolled: 1-line block ×7, first 2 shown]
	s_waitcnt vmcnt(0)
	v_add_f64 v[18:19], v[12:13], -v[32:33]
	v_add_f64 v[16:17], v[14:15], -v[34:35]
	v_add_f64 v[14:15], v[14:15], v[34:35]
	v_add_f64 v[12:13], v[12:13], v[32:33]
	;; [unrolled: 1-line block ×4, first 2 shown]
	scratch_load_b128 v[32:35], off, off offset:52 ; 16-byte Folded Reload
	v_mul_f64 v[128:129], v[18:19], s[34:35]
	v_mul_f64 v[130:131], v[16:17], s[34:35]
	s_waitcnt vmcnt(0)
	v_add_f64 v[60:61], v[8:9], -v[32:33]
	v_add_f64 v[62:63], v[10:11], -v[34:35]
	v_add_f64 v[64:65], v[10:11], v[34:35]
	v_add_f64 v[66:67], v[8:9], v[32:33]
	;; [unrolled: 1-line block ×4, first 2 shown]
	scratch_load_b128 v[28:31], off, off offset:36 ; 16-byte Folded Reload
	v_mul_f64 v[124:125], v[60:61], s[36:37]
	v_mul_f64 v[126:127], v[62:63], s[36:37]
	s_waitcnt vmcnt(0)
	v_add_f64 v[68:69], v[4:5], -v[28:29]
	v_add_f64 v[70:71], v[6:7], -v[30:31]
	v_add_f64 v[72:73], v[6:7], v[30:31]
	v_add_f64 v[74:75], v[4:5], v[28:29]
	;; [unrolled: 1-line block ×4, first 2 shown]
	s_clause 0x1
	scratch_load_b128 v[8:11], off, off offset:20
	scratch_load_b128 v[30:33], off, off offset:4
	v_mul_f64 v[122:123], v[70:71], s[0:1]
	s_waitcnt vmcnt(1)
	v_add_f64 v[76:77], v[0:1], -v[8:9]
	v_add_f64 v[82:83], v[0:1], v[8:9]
	v_add_f64 v[0:1], v[4:5], v[10:11]
	;; [unrolled: 1-line block ×3, first 2 shown]
	s_waitcnt vmcnt(0)
	v_add_f64 v[6:7], v[252:253], -v[30:31]
	v_add_f64 v[78:79], v[2:3], -v[10:11]
	v_add_f64 v[80:81], v[2:3], v[10:11]
	v_add_f64 v[8:9], v[254:255], -v[32:33]
	v_add_f64 v[10:11], v[254:255], v[32:33]
	v_add_f64 v[28:29], v[252:253], v[30:31]
	v_mul_f64 v[118:119], v[76:77], s[12:13]
	v_mul_f64 v[136:137], v[76:77], s[0:1]
	v_add_f64 v[2:3], v[0:1], v[32:33]
	v_add_f64 v[0:1], v[4:5], v[30:31]
	v_mul_f64 v[4:5], v[6:7], s[0:1]
	v_mul_f64 v[30:31], v[6:7], s[8:9]
	v_mul_f64 v[32:33], v[6:7], s[12:13]
	v_mul_f64 v[34:35], v[6:7], s[18:19]
	v_mul_f64 v[36:37], v[6:7], s[16:17]
	v_mul_f64 v[6:7], v[6:7], s[42:43]
	v_mul_f64 v[50:51], v[8:9], s[8:9]
	v_mul_f64 v[52:53], v[8:9], s[12:13]
	v_mul_f64 v[54:55], v[8:9], s[18:19]
	v_mul_f64 v[56:57], v[8:9], s[16:17]
	v_mul_f64 v[120:121], v[78:79], s[12:13]
	v_mul_f64 v[139:140], v[78:79], s[0:1]
	v_fma_f64 v[38:39], v[10:11], s[2:3], v[4:5]
	v_fma_f64 v[4:5], v[10:11], s[2:3], -v[4:5]
	v_fma_f64 v[40:41], v[10:11], s[14:15], v[30:31]
	v_fma_f64 v[30:31], v[10:11], s[14:15], -v[30:31]
	;; [unrolled: 2-line block ×6, first 2 shown]
	v_mul_f64 v[10:11], v[8:9], s[0:1]
	v_mul_f64 v[8:9], v[8:9], s[42:43]
	v_fma_f64 v[84:85], v[28:29], s[14:15], -v[50:51]
	v_fma_f64 v[50:51], v[28:29], s[14:15], v[50:51]
	v_fma_f64 v[86:87], v[28:29], s[20:21], -v[52:53]
	v_fma_f64 v[52:53], v[28:29], s[20:21], v[52:53]
	;; [unrolled: 2-line block ×4, first 2 shown]
	v_add_f64 v[40:41], v[250:251], v[40:41]
	v_add_f64 v[94:95], v[250:251], v[30:31]
	v_mul_f64 v[30:31], v[68:69], s[8:9]
	v_add_f64 v[96:97], v[250:251], v[32:33]
	v_add_f64 v[98:99], v[250:251], v[44:45]
	;; [unrolled: 1-line block ×7, first 2 shown]
	v_fma_f64 v[58:59], v[28:29], s[2:3], -v[10:11]
	v_fma_f64 v[92:93], v[28:29], s[26:27], -v[8:9]
	v_fma_f64 v[8:9], v[28:29], s[26:27], v[8:9]
	v_fma_f64 v[10:11], v[28:29], s[2:3], v[10:11]
	v_add_f64 v[28:29], v[250:251], v[38:39]
	v_add_f64 v[84:85], v[248:249], v[84:85]
	;; [unrolled: 1-line block ×10, first 2 shown]
	v_fma_f64 v[32:33], v[72:73], s[14:15], v[30:31]
	v_add_f64 v[38:39], v[248:249], v[58:59]
	v_add_f64 v[58:59], v[250:251], v[4:5]
	;; [unrolled: 1-line block ×3, first 2 shown]
	v_mul_f64 v[8:9], v[76:77], s[28:29]
	v_add_f64 v[10:11], v[248:249], v[10:11]
	v_add_f64 v[92:93], v[248:249], v[92:93]
	s_delay_alu instid0(VALU_DEP_3) | instskip(SKIP_1) | instid1(VALU_DEP_2)
	v_fma_f64 v[4:5], v[80:81], s[26:27], v[8:9]
	v_fma_f64 v[8:9], v[80:81], s[26:27], -v[8:9]
	v_add_f64 v[4:5], v[4:5], v[28:29]
	v_mul_f64 v[28:29], v[78:79], s[28:29]
	s_delay_alu instid0(VALU_DEP_3) | instskip(NEXT) | instid1(VALU_DEP_3)
	v_add_f64 v[8:9], v[8:9], v[58:59]
	v_add_f64 v[4:5], v[32:33], v[4:5]
	s_delay_alu instid0(VALU_DEP_3) | instskip(SKIP_2) | instid1(VALU_DEP_3)
	v_fma_f64 v[6:7], v[82:83], s[26:27], -v[28:29]
	v_mul_f64 v[32:33], v[70:71], s[8:9]
	v_fma_f64 v[28:29], v[82:83], s[26:27], v[28:29]
	v_add_f64 v[6:7], v[6:7], v[38:39]
	s_delay_alu instid0(VALU_DEP_3) | instskip(NEXT) | instid1(VALU_DEP_3)
	v_fma_f64 v[34:35], v[74:75], s[14:15], -v[32:33]
	v_add_f64 v[10:11], v[28:29], v[10:11]
	v_fma_f64 v[28:29], v[72:73], s[14:15], -v[30:31]
	v_fma_f64 v[30:31], v[20:21], s[24:25], v[114:115]
	s_delay_alu instid0(VALU_DEP_4) | instskip(SKIP_1) | instid1(VALU_DEP_4)
	v_add_f64 v[6:7], v[34:35], v[6:7]
	v_mul_f64 v[34:35], v[60:61], s[38:39]
	v_add_f64 v[8:9], v[28:29], v[8:9]
	v_fma_f64 v[28:29], v[74:75], s[14:15], v[32:33]
	v_mul_f64 v[32:33], v[76:77], s[34:35]
	s_delay_alu instid0(VALU_DEP_4) | instskip(NEXT) | instid1(VALU_DEP_3)
	v_fma_f64 v[36:37], v[64:65], s[22:23], v[34:35]
	v_add_f64 v[10:11], v[28:29], v[10:11]
	v_fma_f64 v[28:29], v[64:65], s[22:23], -v[34:35]
	v_mul_f64 v[34:35], v[78:79], s[34:35]
	s_delay_alu instid0(VALU_DEP_4) | instskip(SKIP_1) | instid1(VALU_DEP_4)
	v_add_f64 v[4:5], v[36:37], v[4:5]
	v_mul_f64 v[36:37], v[62:63], s[38:39]
	v_add_f64 v[8:9], v[28:29], v[8:9]
	s_delay_alu instid0(VALU_DEP_2) | instskip(SKIP_2) | instid1(VALU_DEP_3)
	v_fma_f64 v[38:39], v[66:67], s[22:23], -v[36:37]
	v_fma_f64 v[28:29], v[66:67], s[22:23], v[36:37]
	v_mul_f64 v[36:37], v[68:69], s[16:17]
	v_add_f64 v[6:7], v[38:39], v[6:7]
	v_mul_f64 v[38:39], v[18:19], s[12:13]
	s_delay_alu instid0(VALU_DEP_4) | instskip(NEXT) | instid1(VALU_DEP_2)
	v_add_f64 v[10:11], v[28:29], v[10:11]
	v_fma_f64 v[48:49], v[14:15], s[20:21], v[38:39]
	v_fma_f64 v[28:29], v[14:15], s[20:21], -v[38:39]
	v_fma_f64 v[38:39], v[72:73], s[22:23], v[36:37]
	v_fma_f64 v[36:37], v[72:73], s[22:23], -v[36:37]
	s_delay_alu instid0(VALU_DEP_4) | instskip(SKIP_2) | instid1(VALU_DEP_2)
	v_add_f64 v[4:5], v[48:49], v[4:5]
	v_mul_f64 v[48:49], v[16:17], s[12:13]
	v_add_f64 v[8:9], v[28:29], v[8:9]
	v_fma_f64 v[28:29], v[12:13], s[20:21], v[48:49]
	v_fma_f64 v[110:111], v[12:13], s[20:21], -v[48:49]
	s_delay_alu instid0(VALU_DEP_2) | instskip(SKIP_1) | instid1(VALU_DEP_3)
	v_add_f64 v[28:29], v[28:29], v[10:11]
	v_fma_f64 v[10:11], v[22:23], s[24:25], -v[112:113]
	v_add_f64 v[110:111], v[110:111], v[6:7]
	v_fma_f64 v[6:7], v[22:23], s[24:25], v[112:113]
	v_mul_f64 v[112:113], v[26:27], s[12:13]
	s_delay_alu instid0(VALU_DEP_4)
	v_add_f64 v[10:11], v[10:11], v[8:9]
	v_add_f64 v[8:9], v[30:31], v[28:29]
	v_fma_f64 v[28:29], v[80:81], s[24:25], v[32:33]
	v_fma_f64 v[30:31], v[82:83], s[24:25], -v[34:35]
	v_fma_f64 v[32:33], v[80:81], s[24:25], -v[32:33]
	v_fma_f64 v[34:35], v[82:83], s[24:25], v[34:35]
	v_add_f64 v[6:7], v[6:7], v[4:5]
	v_fma_f64 v[4:5], v[20:21], s[24:25], -v[114:115]
	v_mul_f64 v[114:115], v[24:25], s[12:13]
	v_mul_f64 v[24:25], v[24:25], s[0:1]
	v_add_f64 v[28:29], v[28:29], v[40:41]
	v_add_f64 v[30:31], v[30:31], v[84:85]
	;; [unrolled: 1-line block ×4, first 2 shown]
	v_mul_f64 v[50:51], v[78:79], s[36:37]
	v_add_f64 v[4:5], v[4:5], v[110:111]
	v_mul_f64 v[94:95], v[62:63], s[18:19]
	v_add_f64 v[28:29], v[38:39], v[28:29]
	;; [unrolled: 2-line block ×3, first 2 shown]
	s_delay_alu instid0(VALU_DEP_2) | instskip(SKIP_2) | instid1(VALU_DEP_3)
	v_fma_f64 v[40:41], v[74:75], s[22:23], -v[38:39]
	v_fma_f64 v[36:37], v[74:75], s[22:23], v[38:39]
	v_fma_f64 v[38:39], v[20:21], s[20:21], v[114:115]
	v_add_f64 v[30:31], v[40:41], v[30:31]
	v_mul_f64 v[40:41], v[60:61], s[40:41]
	s_delay_alu instid0(VALU_DEP_4) | instskip(NEXT) | instid1(VALU_DEP_2)
	v_add_f64 v[34:35], v[36:37], v[34:35]
	v_fma_f64 v[48:49], v[64:65], s[2:3], v[40:41]
	v_fma_f64 v[36:37], v[64:65], s[2:3], -v[40:41]
	s_delay_alu instid0(VALU_DEP_2) | instskip(SKIP_1) | instid1(VALU_DEP_3)
	v_add_f64 v[28:29], v[48:49], v[28:29]
	v_mul_f64 v[48:49], v[62:63], s[40:41]
	v_add_f64 v[32:33], v[36:37], v[32:33]
	s_delay_alu instid0(VALU_DEP_2) | instskip(SKIP_2) | instid1(VALU_DEP_3)
	v_fma_f64 v[58:59], v[66:67], s[2:3], -v[48:49]
	v_fma_f64 v[36:37], v[66:67], s[2:3], v[48:49]
	v_mul_f64 v[48:49], v[76:77], s[36:37]
	v_add_f64 v[30:31], v[58:59], v[30:31]
	v_mul_f64 v[58:59], v[18:19], s[28:29]
	s_delay_alu instid0(VALU_DEP_4) | instskip(NEXT) | instid1(VALU_DEP_2)
	v_add_f64 v[34:35], v[36:37], v[34:35]
	v_fma_f64 v[84:85], v[14:15], s[26:27], v[58:59]
	v_fma_f64 v[36:37], v[14:15], s[26:27], -v[58:59]
	v_mul_f64 v[58:59], v[68:69], s[28:29]
	s_delay_alu instid0(VALU_DEP_3) | instskip(SKIP_1) | instid1(VALU_DEP_4)
	v_add_f64 v[28:29], v[84:85], v[28:29]
	v_mul_f64 v[84:85], v[16:17], s[28:29]
	v_add_f64 v[32:33], v[36:37], v[32:33]
	s_delay_alu instid0(VALU_DEP_4) | instskip(NEXT) | instid1(VALU_DEP_3)
	v_fma_f64 v[40:41], v[72:73], s[26:27], v[58:59]
	v_fma_f64 v[36:37], v[12:13], s[26:27], v[84:85]
	v_fma_f64 v[110:111], v[12:13], s[26:27], -v[84:85]
	v_mul_f64 v[84:85], v[70:71], s[28:29]
	s_delay_alu instid0(VALU_DEP_3) | instskip(SKIP_1) | instid1(VALU_DEP_4)
	v_add_f64 v[36:37], v[36:37], v[34:35]
	v_fma_f64 v[34:35], v[22:23], s[20:21], -v[112:113]
	v_add_f64 v[110:111], v[110:111], v[30:31]
	v_fma_f64 v[30:31], v[22:23], s[20:21], v[112:113]
	v_mul_f64 v[112:113], v[16:17], s[40:41]
	s_delay_alu instid0(VALU_DEP_4)
	v_add_f64 v[34:35], v[34:35], v[32:33]
	v_add_f64 v[32:33], v[38:39], v[36:37]
	v_fma_f64 v[36:37], v[80:81], s[14:15], v[48:49]
	v_fma_f64 v[38:39], v[82:83], s[14:15], -v[50:51]
	v_add_f64 v[30:31], v[30:31], v[28:29]
	v_fma_f64 v[28:29], v[20:21], s[20:21], -v[114:115]
	v_mul_f64 v[114:115], v[26:27], s[38:39]
	v_fma_f64 v[48:49], v[80:81], s[14:15], -v[48:49]
	v_fma_f64 v[50:51], v[82:83], s[14:15], v[50:51]
	v_mul_f64 v[26:27], v[26:27], s[0:1]
	v_add_f64 v[36:37], v[36:37], v[42:43]
	v_add_f64 v[38:39], v[38:39], v[86:87]
	v_mul_f64 v[86:87], v[60:61], s[18:19]
	v_add_f64 v[28:29], v[28:29], v[110:111]
	v_mul_f64 v[110:111], v[18:19], s[40:41]
	v_fma_f64 v[42:43], v[82:83], s[20:21], v[120:121]
	v_add_f64 v[48:49], v[48:49], v[96:97]
	v_add_f64 v[50:51], v[50:51], v[52:53]
	v_fma_f64 v[52:53], v[72:73], s[26:27], -v[58:59]
	v_fma_f64 v[58:59], v[20:21], s[22:23], v[116:117]
	v_add_f64 v[36:37], v[40:41], v[36:37]
	v_fma_f64 v[40:41], v[74:75], s[26:27], -v[84:85]
	v_add_f64 v[42:43], v[42:43], v[56:57]
	v_mul_f64 v[56:57], v[68:69], s[0:1]
	v_add_f64 v[48:49], v[52:53], v[48:49]
	v_fma_f64 v[52:53], v[74:75], s[26:27], v[84:85]
	v_fma_f64 v[84:85], v[20:21], s[14:15], -v[180:181]
	v_add_f64 v[38:39], v[40:41], v[38:39]
	v_fma_f64 v[40:41], v[64:65], s[24:25], v[86:87]
	s_delay_alu instid0(VALU_DEP_4) | instskip(SKIP_2) | instid1(VALU_DEP_4)
	v_add_f64 v[50:51], v[52:53], v[50:51]
	v_fma_f64 v[52:53], v[64:65], s[24:25], -v[86:87]
	v_fma_f64 v[86:87], v[20:21], s[26:27], -v[134:135]
	v_add_f64 v[36:37], v[40:41], v[36:37]
	v_fma_f64 v[40:41], v[66:67], s[24:25], -v[94:95]
	s_delay_alu instid0(VALU_DEP_4) | instskip(SKIP_1) | instid1(VALU_DEP_3)
	v_add_f64 v[48:49], v[52:53], v[48:49]
	v_fma_f64 v[52:53], v[66:67], s[24:25], v[94:95]
	v_add_f64 v[38:39], v[40:41], v[38:39]
	v_fma_f64 v[40:41], v[14:15], s[2:3], v[110:111]
	s_delay_alu instid0(VALU_DEP_3) | instskip(SKIP_1) | instid1(VALU_DEP_3)
	v_add_f64 v[50:51], v[52:53], v[50:51]
	v_fma_f64 v[52:53], v[14:15], s[2:3], -v[110:111]
	v_add_f64 v[36:37], v[40:41], v[36:37]
	v_fma_f64 v[40:41], v[12:13], s[2:3], -v[112:113]
	s_delay_alu instid0(VALU_DEP_3) | instskip(SKIP_1) | instid1(VALU_DEP_3)
	v_add_f64 v[48:49], v[52:53], v[48:49]
	v_fma_f64 v[52:53], v[12:13], s[2:3], v[112:113]
	v_add_f64 v[40:41], v[40:41], v[38:39]
	v_fma_f64 v[38:39], v[22:23], s[22:23], v[114:115]
	s_delay_alu instid0(VALU_DEP_3) | instskip(SKIP_1) | instid1(VALU_DEP_3)
	v_add_f64 v[52:53], v[52:53], v[50:51]
	v_fma_f64 v[50:51], v[22:23], s[22:23], -v[114:115]
	v_add_f64 v[38:39], v[38:39], v[36:37]
	v_fma_f64 v[36:37], v[20:21], s[22:23], -v[116:117]
	s_delay_alu instid0(VALU_DEP_3)
	v_add_f64 v[50:51], v[50:51], v[48:49]
	v_add_f64 v[48:49], v[58:59], v[52:53]
	v_fma_f64 v[52:53], v[80:81], s[2:3], v[136:137]
	v_fma_f64 v[58:59], v[82:83], s[2:3], -v[139:140]
	v_add_f64 v[36:37], v[36:37], v[40:41]
	v_fma_f64 v[40:41], v[80:81], s[20:21], -v[118:119]
	s_delay_alu instid0(VALU_DEP_4) | instskip(NEXT) | instid1(VALU_DEP_4)
	v_add_f64 v[52:53], v[52:53], v[98:99]
	v_add_f64 v[58:59], v[58:59], v[88:89]
	s_delay_alu instid0(VALU_DEP_3) | instskip(SKIP_2) | instid1(VALU_DEP_2)
	v_add_f64 v[40:41], v[40:41], v[46:47]
	v_fma_f64 v[46:47], v[72:73], s[2:3], -v[56:57]
	v_fma_f64 v[56:57], v[72:73], s[2:3], v[56:57]
	v_add_f64 v[40:41], v[46:47], v[40:41]
	v_fma_f64 v[46:47], v[74:75], s[2:3], v[122:123]
	s_delay_alu instid0(VALU_DEP_1) | instskip(SKIP_1) | instid1(VALU_DEP_1)
	v_add_f64 v[42:43], v[46:47], v[42:43]
	v_fma_f64 v[46:47], v[64:65], s[14:15], -v[124:125]
	v_add_f64 v[40:41], v[46:47], v[40:41]
	v_fma_f64 v[46:47], v[66:67], s[14:15], v[126:127]
	s_delay_alu instid0(VALU_DEP_1) | instskip(SKIP_1) | instid1(VALU_DEP_1)
	v_add_f64 v[42:43], v[46:47], v[42:43]
	v_fma_f64 v[46:47], v[14:15], s[24:25], -v[128:129]
	;; [unrolled: 5-line block ×4, first 2 shown]
	v_add_f64 v[44:45], v[46:47], v[44:45]
	v_fma_f64 v[46:47], v[82:83], s[2:3], v[139:140]
	s_delay_alu instid0(VALU_DEP_1) | instskip(SKIP_2) | instid1(VALU_DEP_2)
	v_add_f64 v[46:47], v[46:47], v[54:55]
	v_mul_f64 v[54:55], v[68:69], s[30:31]
	v_mul_f64 v[68:69], v[68:69], s[18:19]
	v_fma_f64 v[141:142], v[72:73], s[20:21], -v[54:55]
	v_fma_f64 v[54:55], v[72:73], s[20:21], v[54:55]
	s_delay_alu instid0(VALU_DEP_2) | instskip(SKIP_1) | instid1(VALU_DEP_3)
	v_add_f64 v[44:45], v[141:142], v[44:45]
	v_mul_f64 v[141:142], v[70:71], s[30:31]
	v_add_f64 v[52:53], v[54:55], v[52:53]
	v_mul_f64 v[70:71], v[70:71], s[18:19]
	s_delay_alu instid0(VALU_DEP_3) | instskip(SKIP_1) | instid1(VALU_DEP_2)
	v_fma_f64 v[148:149], v[74:75], s[20:21], v[141:142]
	v_fma_f64 v[54:55], v[74:75], s[20:21], -v[141:142]
	v_add_f64 v[46:47], v[148:149], v[46:47]
	v_mul_f64 v[148:149], v[60:61], s[28:29]
	s_delay_alu instid0(VALU_DEP_3) | instskip(SKIP_1) | instid1(VALU_DEP_3)
	v_add_f64 v[54:55], v[54:55], v[58:59]
	v_mul_f64 v[60:61], v[60:61], s[12:13]
	v_fma_f64 v[150:151], v[64:65], s[26:27], -v[148:149]
	v_fma_f64 v[58:59], v[64:65], s[26:27], v[148:149]
	s_delay_alu instid0(VALU_DEP_2) | instskip(SKIP_1) | instid1(VALU_DEP_3)
	v_add_f64 v[44:45], v[150:151], v[44:45]
	v_mul_f64 v[150:151], v[62:63], s[28:29]
	v_add_f64 v[52:53], v[58:59], v[52:53]
	v_mul_f64 v[62:63], v[62:63], s[12:13]
	s_delay_alu instid0(VALU_DEP_3) | instskip(SKIP_1) | instid1(VALU_DEP_2)
	v_fma_f64 v[152:153], v[66:67], s[26:27], v[150:151]
	v_fma_f64 v[58:59], v[66:67], s[26:27], -v[150:151]
	v_add_f64 v[46:47], v[152:153], v[46:47]
	v_mul_f64 v[152:153], v[18:19], s[16:17]
	s_delay_alu instid0(VALU_DEP_3) | instskip(SKIP_1) | instid1(VALU_DEP_3)
	v_add_f64 v[54:55], v[58:59], v[54:55]
	v_mul_f64 v[18:19], v[18:19], s[8:9]
	v_fma_f64 v[154:155], v[14:15], s[22:23], -v[152:153]
	v_fma_f64 v[58:59], v[14:15], s[22:23], v[152:153]
	s_delay_alu instid0(VALU_DEP_2) | instskip(SKIP_1) | instid1(VALU_DEP_3)
	v_add_f64 v[44:45], v[154:155], v[44:45]
	v_mul_f64 v[154:155], v[16:17], s[16:17]
	v_add_f64 v[52:53], v[58:59], v[52:53]
	v_mul_f64 v[16:17], v[16:17], s[8:9]
	s_delay_alu instid0(VALU_DEP_3) | instskip(SKIP_1) | instid1(VALU_DEP_2)
	v_fma_f64 v[58:59], v[12:13], s[22:23], -v[154:155]
	v_fma_f64 v[176:177], v[12:13], s[22:23], v[154:155]
	v_add_f64 v[58:59], v[58:59], v[54:55]
	v_fma_f64 v[54:55], v[22:23], s[14:15], v[178:179]
	s_delay_alu instid0(VALU_DEP_3) | instskip(SKIP_1) | instid1(VALU_DEP_3)
	v_add_f64 v[176:177], v[176:177], v[46:47]
	v_fma_f64 v[46:47], v[22:23], s[14:15], -v[178:179]
	v_add_f64 v[54:55], v[54:55], v[52:53]
	v_add_f64 v[52:53], v[84:85], v[58:59]
	v_fma_f64 v[58:59], v[80:81], s[20:21], v[118:119]
	v_fma_f64 v[84:85], v[82:83], s[20:21], -v[120:121]
	v_add_f64 v[46:47], v[46:47], v[44:45]
	v_fma_f64 v[44:45], v[20:21], s[14:15], v[180:181]
	s_delay_alu instid0(VALU_DEP_4) | instskip(NEXT) | instid1(VALU_DEP_4)
	v_add_f64 v[58:59], v[58:59], v[100:101]
	v_add_f64 v[84:85], v[84:85], v[90:91]
	s_delay_alu instid0(VALU_DEP_3) | instskip(NEXT) | instid1(VALU_DEP_3)
	v_add_f64 v[44:45], v[44:45], v[176:177]
	v_add_f64 v[56:57], v[56:57], v[58:59]
	v_fma_f64 v[58:59], v[74:75], s[2:3], -v[122:123]
	s_delay_alu instid0(VALU_DEP_1) | instskip(SKIP_1) | instid1(VALU_DEP_1)
	v_add_f64 v[58:59], v[58:59], v[84:85]
	v_fma_f64 v[84:85], v[64:65], s[14:15], v[124:125]
	v_add_f64 v[56:57], v[84:85], v[56:57]
	v_fma_f64 v[84:85], v[66:67], s[14:15], -v[126:127]
	s_delay_alu instid0(VALU_DEP_1) | instskip(SKIP_1) | instid1(VALU_DEP_1)
	v_add_f64 v[58:59], v[84:85], v[58:59]
	v_fma_f64 v[84:85], v[14:15], s[24:25], v[128:129]
	v_add_f64 v[56:57], v[84:85], v[56:57]
	v_fma_f64 v[84:85], v[12:13], s[24:25], -v[130:131]
	s_delay_alu instid0(VALU_DEP_1) | instskip(SKIP_1) | instid1(VALU_DEP_1)
	v_add_f64 v[84:85], v[84:85], v[58:59]
	v_fma_f64 v[58:59], v[22:23], s[26:27], v[132:133]
	v_add_f64 v[58:59], v[58:59], v[56:57]
	s_delay_alu instid0(VALU_DEP_3) | instskip(SKIP_3) | instid1(VALU_DEP_1)
	v_add_f64 v[56:57], v[86:87], v[84:85]
	v_fma_f64 v[84:85], v[72:73], s[24:25], v[68:69]
	v_fma_f64 v[68:69], v[72:73], s[24:25], -v[68:69]
	v_mul_f64 v[72:73], v[76:77], s[16:17]
	v_fma_f64 v[76:77], v[80:81], s[22:23], v[72:73]
	v_fma_f64 v[72:73], v[80:81], s[22:23], -v[72:73]
	v_fma_f64 v[80:81], v[74:75], s[24:25], -v[70:71]
	v_fma_f64 v[70:71], v[74:75], s[24:25], v[70:71]
	v_mul_f64 v[74:75], v[78:79], s[16:17]
	s_delay_alu instid0(VALU_DEP_4) | instskip(NEXT) | instid1(VALU_DEP_2)
	v_add_f64 v[72:73], v[72:73], v[106:107]
	v_fma_f64 v[78:79], v[82:83], s[22:23], -v[74:75]
	v_fma_f64 v[74:75], v[82:83], s[22:23], v[74:75]
	v_fma_f64 v[82:83], v[64:65], s[20:21], v[60:61]
	v_fma_f64 v[60:61], v[64:65], s[20:21], -v[60:61]
	v_fma_f64 v[64:65], v[66:67], s[20:21], -v[62:63]
	v_fma_f64 v[62:63], v[66:67], s[20:21], v[62:63]
	v_fma_f64 v[66:67], v[14:15], s[14:15], v[18:19]
	v_fma_f64 v[14:15], v[14:15], s[14:15], -v[18:19]
	v_add_f64 v[18:19], v[76:77], v[102:103]
	v_add_f64 v[76:77], v[78:79], v[92:93]
	;; [unrolled: 1-line block ×3, first 2 shown]
	v_fma_f64 v[78:79], v[12:13], s[14:15], -v[16:17]
	v_fma_f64 v[12:13], v[12:13], s[14:15], v[16:17]
	v_add_f64 v[16:17], v[84:85], v[18:19]
	v_add_f64 v[18:19], v[68:69], v[72:73]
	v_fma_f64 v[72:73], v[22:23], s[2:3], v[26:27]
	v_fma_f64 v[22:23], v[22:23], s[2:3], -v[26:27]
	v_add_f64 v[68:69], v[70:71], v[74:75]
	v_add_f64 v[70:71], v[80:81], v[76:77]
	v_add_f64 v[16:17], v[82:83], v[16:17]
	v_add_f64 v[18:19], v[60:61], v[18:19]
	s_delay_alu instid0(VALU_DEP_4)
	v_add_f64 v[26:27], v[62:63], v[68:69]
	v_fma_f64 v[62:63], v[20:21], s[2:3], -v[24:25]
	v_fma_f64 v[20:21], v[20:21], s[2:3], v[24:25]
	v_add_f64 v[60:61], v[64:65], v[70:71]
	v_add_f64 v[16:17], v[66:67], v[16:17]
	;; [unrolled: 1-line block ×4, first 2 shown]
	s_delay_alu instid0(VALU_DEP_4) | instskip(NEXT) | instid1(VALU_DEP_4)
	v_add_f64 v[24:25], v[78:79], v[60:61]
	v_add_f64 v[18:19], v[72:73], v[16:17]
	s_delay_alu instid0(VALU_DEP_4) | instskip(NEXT) | instid1(VALU_DEP_4)
	v_add_f64 v[14:15], v[22:23], v[14:15]
	v_add_f64 v[12:13], v[20:21], v[12:13]
	scratch_load_b32 v20, off, off offset:812 ; 4-byte Folded Reload
	v_add_f64 v[16:17], v[62:63], v[24:25]
	s_waitcnt vmcnt(0)
	v_lshlrev_b32_e32 v20, 4, v20
	ds_store_b128 v20, v[40:43] offset:32
	ds_store_b128 v20, v[44:47] offset:48
	;; [unrolled: 1-line block ×11, first 2 shown]
	ds_store_b128 v20, v[0:3]
	ds_store_b128 v20, v[16:19] offset:192
.LBB0_13:
	s_or_b32 exec_lo, exec_lo, s33
	s_waitcnt lgkmcnt(0)
	s_barrier
	buffer_gl0_inv
	scratch_load_b128 v[6:9], off, off offset:428 ; 16-byte Folded Reload
	ds_load_b128 v[0:3], v138 offset:4368
	s_mov_b32 s2, 0x429ad128
	s_mov_b32 s20, 0x37e14327
	;; [unrolled: 1-line block ×20, first 2 shown]
	s_clause 0x4
	scratch_load_b128 v[20:23], off, off offset:620
	scratch_load_b128 v[16:19], off, off offset:604
	;; [unrolled: 1-line block ×5, first 2 shown]
	s_waitcnt vmcnt(5) lgkmcnt(0)
	v_mul_f64 v[4:5], v[8:9], v[2:3]
	s_delay_alu instid0(VALU_DEP_1) | instskip(SKIP_1) | instid1(VALU_DEP_1)
	v_fma_f64 v[60:61], v[6:7], v[0:1], v[4:5]
	v_mul_f64 v[0:1], v[8:9], v[0:1]
	v_fma_f64 v[62:63], v[6:7], v[2:3], -v[0:1]
	scratch_load_b128 v[6:9], off, off offset:412 ; 16-byte Folded Reload
	ds_load_b128 v[0:3], v138 offset:8736
	s_waitcnt vmcnt(0) lgkmcnt(0)
	v_mul_f64 v[4:5], v[8:9], v[2:3]
	s_delay_alu instid0(VALU_DEP_1) | instskip(SKIP_1) | instid1(VALU_DEP_1)
	v_fma_f64 v[64:65], v[6:7], v[0:1], v[4:5]
	v_mul_f64 v[0:1], v[8:9], v[0:1]
	v_fma_f64 v[66:67], v[6:7], v[2:3], -v[0:1]
	scratch_load_b128 v[6:9], off, off offset:508 ; 16-byte Folded Reload
	ds_load_b128 v[0:3], v138 offset:13104
	;; [unrolled: 8-line block ×4, first 2 shown]
	v_add_f64 v[58:59], v[70:71], v[74:75]
	v_add_f64 v[70:71], v[74:75], -v[70:71]
	s_waitcnt vmcnt(0) lgkmcnt(0)
	v_mul_f64 v[4:5], v[8:9], v[2:3]
	s_delay_alu instid0(VALU_DEP_1) | instskip(SKIP_1) | instid1(VALU_DEP_2)
	v_fma_f64 v[76:77], v[6:7], v[0:1], v[4:5]
	v_mul_f64 v[0:1], v[8:9], v[0:1]
	v_add_f64 v[84:85], v[64:65], v[76:77]
	s_delay_alu instid0(VALU_DEP_2)
	v_fma_f64 v[78:79], v[6:7], v[2:3], -v[0:1]
	scratch_load_b128 v[6:9], off, off offset:348 ; 16-byte Folded Reload
	ds_load_b128 v[0:3], v138 offset:26208
	v_add_f64 v[64:65], v[64:65], -v[76:77]
	v_add_f64 v[88:89], v[66:67], v[78:79]
	s_waitcnt vmcnt(0) lgkmcnt(0)
	v_mul_f64 v[4:5], v[8:9], v[2:3]
	s_delay_alu instid0(VALU_DEP_1) | instskip(SKIP_1) | instid1(VALU_DEP_1)
	v_fma_f64 v[80:81], v[6:7], v[0:1], v[4:5]
	v_mul_f64 v[0:1], v[8:9], v[0:1]
	v_fma_f64 v[82:83], v[6:7], v[2:3], -v[0:1]
	scratch_load_b128 v[6:9], off, off offset:380 ; 16-byte Folded Reload
	ds_load_b128 v[0:3], v138 offset:5824
	v_add_f64 v[56:57], v[62:63], v[82:83]
	v_add_f64 v[74:75], v[62:63], -v[82:83]
	v_add_f64 v[82:83], v[58:59], -v[88:89]
	s_waitcnt vmcnt(0) lgkmcnt(0)
	v_mul_f64 v[4:5], v[8:9], v[2:3]
	s_delay_alu instid0(VALU_DEP_1) | instskip(SKIP_1) | instid1(VALU_DEP_1)
	v_fma_f64 v[30:31], v[6:7], v[0:1], v[4:5]
	v_mul_f64 v[0:1], v[8:9], v[0:1]
	v_fma_f64 v[28:29], v[6:7], v[2:3], -v[0:1]
	scratch_load_b128 v[6:9], off, off offset:364 ; 16-byte Folded Reload
	ds_load_b128 v[0:3], v138 offset:10192
	s_waitcnt vmcnt(0) lgkmcnt(0)
	v_mul_f64 v[4:5], v[8:9], v[2:3]
	s_delay_alu instid0(VALU_DEP_1) | instskip(SKIP_1) | instid1(VALU_DEP_1)
	v_fma_f64 v[34:35], v[6:7], v[0:1], v[4:5]
	v_mul_f64 v[0:1], v[8:9], v[0:1]
	v_fma_f64 v[32:33], v[6:7], v[2:3], -v[0:1]
	scratch_load_b128 v[6:9], off, off offset:476 ; 16-byte Folded Reload
	ds_load_b128 v[0:3], v138 offset:14560
	;; [unrolled: 8-line block ×5, first 2 shown]
	s_waitcnt vmcnt(0) lgkmcnt(0)
	v_mul_f64 v[4:5], v[8:9], v[2:3]
	s_delay_alu instid0(VALU_DEP_1)
	v_fma_f64 v[50:51], v[6:7], v[0:1], v[4:5]
	v_mul_f64 v[0:1], v[8:9], v[0:1]
	scratch_load_b128 v[8:11], off, off offset:556 ; 16-byte Folded Reload
	v_fma_f64 v[48:49], v[6:7], v[2:3], -v[0:1]
	ds_load_b128 v[0:3], v138 offset:7280
	s_waitcnt vmcnt(0) lgkmcnt(0)
	v_mul_f64 v[4:5], v[10:11], v[2:3]
	s_delay_alu instid0(VALU_DEP_1) | instskip(SKIP_1) | instid1(VALU_DEP_1)
	v_fma_f64 v[6:7], v[8:9], v[0:1], v[4:5]
	v_mul_f64 v[0:1], v[10:11], v[0:1]
	v_fma_f64 v[4:5], v[8:9], v[2:3], -v[0:1]
	ds_load_b128 v[0:3], v138 offset:11648
	s_waitcnt lgkmcnt(0)
	v_mul_f64 v[8:9], v[14:15], v[2:3]
	s_delay_alu instid0(VALU_DEP_1) | instskip(SKIP_1) | instid1(VALU_DEP_1)
	v_fma_f64 v[10:11], v[12:13], v[0:1], v[8:9]
	v_mul_f64 v[0:1], v[14:15], v[0:1]
	v_fma_f64 v[8:9], v[12:13], v[2:3], -v[0:1]
	ds_load_b128 v[0:3], v138 offset:16016
	s_waitcnt lgkmcnt(0)
	;; [unrolled: 7-line block ×5, first 2 shown]
	v_mul_f64 v[24:25], v[54:55], v[2:3]
	s_delay_alu instid0(VALU_DEP_1) | instskip(SKIP_4) | instid1(VALU_DEP_4)
	v_fma_f64 v[26:27], v[52:53], v[0:1], v[24:25]
	v_mul_f64 v[0:1], v[54:55], v[0:1]
	v_add_f64 v[54:55], v[68:69], v[72:73]
	v_add_f64 v[68:69], v[72:73], -v[68:69]
	v_add_f64 v[72:73], v[60:61], -v[80:81]
	v_fma_f64 v[24:25], v[52:53], v[2:3], -v[0:1]
	v_add_f64 v[52:53], v[60:61], v[80:81]
	v_add_f64 v[60:61], v[66:67], -v[78:79]
	v_add_f64 v[78:79], v[54:55], -v[84:85]
	v_add_f64 v[62:63], v[68:69], v[64:65]
	v_add_f64 v[66:67], v[68:69], -v[64:65]
	v_add_f64 v[80:81], v[88:89], -v[56:57]
	;; [unrolled: 1-line block ×3, first 2 shown]
	v_add_f64 v[0:1], v[84:85], v[52:53]
	v_add_f64 v[76:77], v[84:85], -v[52:53]
	v_add_f64 v[84:85], v[64:65], -v[72:73]
	v_add_f64 v[64:65], v[70:71], v[60:61]
	v_add_f64 v[92:93], v[60:61], -v[74:75]
	v_add_f64 v[52:53], v[52:53], -v[54:55]
	v_add_f64 v[94:95], v[62:63], v[72:73]
	v_mul_f64 v[98:99], v[66:67], s[14:15]
	v_mul_f64 v[62:63], v[82:83], s[0:1]
	v_add_f64 v[86:87], v[54:55], v[0:1]
	v_add_f64 v[0:1], v[88:89], v[56:57]
	v_add_f64 v[54:55], v[56:57], -v[58:59]
	v_add_f64 v[88:89], v[70:71], -v[60:61]
	v_add_f64 v[96:97], v[64:65], v[74:75]
	v_add_f64 v[70:71], v[74:75], -v[70:71]
	v_mul_f64 v[56:57], v[84:85], s[2:3]
	v_mul_f64 v[60:61], v[78:79], s[0:1]
	;; [unrolled: 1-line block ×3, first 2 shown]
	v_fma_f64 v[62:63], v[80:81], s[12:13], -v[62:63]
	v_fma_f64 v[64:65], v[84:85], s[2:3], -v[98:99]
	v_add_f64 v[90:91], v[58:59], v[0:1]
	ds_load_b128 v[0:3], v138
	v_mul_f64 v[58:59], v[92:93], s[2:3]
	v_mul_f64 v[74:75], v[54:55], s[20:21]
	;; [unrolled: 1-line block ×3, first 2 shown]
	v_fma_f64 v[52:53], v[68:69], s[24:25], -v[56:57]
	v_fma_f64 v[60:61], v[76:77], s[12:13], -v[60:61]
	;; [unrolled: 1-line block ×3, first 2 shown]
	v_fma_f64 v[68:69], v[68:69], s[18:19], v[98:99]
	v_fma_f64 v[72:73], v[78:79], s[0:1], v[72:73]
	v_fma_f64 v[66:67], v[94:95], s[8:9], v[64:65]
	s_waitcnt lgkmcnt(0)
	v_add_f64 v[0:1], v[0:1], v[86:87]
	v_add_f64 v[2:3], v[2:3], v[90:91]
	v_fma_f64 v[54:55], v[70:71], s[24:25], -v[58:59]
	v_fma_f64 v[58:59], v[80:81], s[22:23], -v[74:75]
	v_fma_f64 v[70:71], v[70:71], s[18:19], v[88:89]
	v_fma_f64 v[76:77], v[94:95], s[8:9], v[52:53]
	;; [unrolled: 1-line block ×3, first 2 shown]
	v_fma_f64 v[64:65], v[92:93], s[2:3], -v[88:89]
	v_fma_f64 v[86:87], v[86:87], s[16:17], v[0:1]
	v_fma_f64 v[90:91], v[90:91], s[16:17], v[2:3]
	;; [unrolled: 1-line block ×5, first 2 shown]
	v_add_f64 v[56:57], v[56:57], v[86:87]
	v_add_f64 v[72:73], v[72:73], v[86:87]
	;; [unrolled: 1-line block ×7, first 2 shown]
	v_add_f64 v[56:57], v[56:57], -v[80:81]
	v_add_f64 v[60:61], v[100:101], -v[64:65]
	v_add_f64 v[64:65], v[64:65], v[100:101]
	v_add_f64 v[54:55], v[58:59], -v[76:77]
	v_add_f64 v[58:59], v[76:77], v[58:59]
	v_fma_f64 v[76:77], v[94:95], s[8:9], v[68:69]
	v_add_f64 v[68:69], v[78:79], v[72:73]
	v_add_f64 v[72:73], v[72:73], -v[78:79]
	v_add_f64 v[62:63], v[66:67], v[102:103]
	v_add_f64 v[66:67], v[102:103], -v[66:67]
	v_add_f64 v[70:71], v[74:75], -v[76:77]
	v_add_f64 v[74:75], v[76:77], v[74:75]
	ds_load_b128 v[76:79], v138 offset:2912
	ds_load_b128 v[80:83], v138 offset:1456
	s_waitcnt lgkmcnt(0)
	s_barrier
	buffer_gl0_inv
	scratch_load_b32 v84, off, off offset:732 ; 4-byte Folded Reload
	s_waitcnt vmcnt(0)
	ds_store_b128 v84, v[0:3]
	ds_store_b128 v84, v[68:71] offset:208
	ds_store_b128 v84, v[52:55] offset:416
	ds_store_b128 v84, v[60:63] offset:624
	ds_store_b128 v84, v[64:67] offset:832
	ds_store_b128 v84, v[56:59] offset:1040
	ds_store_b128 v84, v[72:75] offset:1248
	v_add_f64 v[52:53], v[30:31], v[50:51]
	v_add_f64 v[54:55], v[34:35], v[46:47]
	;; [unrolled: 1-line block ×5, first 2 shown]
	v_add_f64 v[34:35], v[34:35], -v[46:47]
	v_add_f64 v[38:39], v[42:43], -v[38:39]
	v_add_f64 v[64:65], v[36:37], v[40:41]
	v_add_f64 v[42:43], v[30:31], -v[50:51]
	v_add_f64 v[30:31], v[32:33], -v[44:45]
	;; [unrolled: 1-line block ×4, first 2 shown]
	v_add_f64 v[0:1], v[54:55], v[52:53]
	v_add_f64 v[44:45], v[54:55], -v[52:53]
	v_add_f64 v[46:47], v[56:57], -v[54:55]
	;; [unrolled: 1-line block ×7, first 2 shown]
	v_add_f64 v[28:29], v[38:39], v[34:35]
	v_add_f64 v[34:35], v[36:37], v[30:31]
	v_add_f64 v[68:69], v[30:31], -v[40:41]
	v_add_f64 v[58:59], v[56:57], v[0:1]
	v_add_f64 v[0:1], v[62:63], v[60:61]
	v_add_f64 v[56:57], v[60:61], -v[64:65]
	v_add_f64 v[62:63], v[36:37], -v[30:31]
	;; [unrolled: 1-line block ×3, first 2 shown]
	v_mul_f64 v[74:75], v[32:33], s[14:15]
	v_mul_f64 v[52:53], v[52:53], s[20:21]
	;; [unrolled: 1-line block ×3, first 2 shown]
	v_add_f64 v[70:71], v[28:29], v[42:43]
	v_mul_f64 v[28:29], v[46:47], s[0:1]
	v_mul_f64 v[38:39], v[68:69], s[2:3]
	v_add_f64 v[72:73], v[34:35], v[40:41]
	v_add_f64 v[66:67], v[64:65], v[0:1]
	v_add_f64 v[64:65], v[40:41], -v[36:37]
	v_mul_f64 v[36:37], v[54:55], s[2:3]
	v_add_f64 v[0:1], v[80:81], v[58:59]
	v_fma_f64 v[32:33], v[54:55], s[2:3], -v[74:75]
	v_mul_f64 v[54:55], v[56:57], s[20:21]
	v_fma_f64 v[40:41], v[44:45], s[22:23], -v[52:53]
	v_fma_f64 v[30:31], v[48:49], s[12:13], -v[30:31]
	v_fma_f64 v[28:29], v[44:45], s[12:13], -v[28:29]
	v_fma_f64 v[46:47], v[46:47], s[0:1], v[52:53]
	v_mul_f64 v[62:63], v[62:63], s[14:15]
	v_add_f64 v[2:3], v[82:83], v[66:67]
	v_fma_f64 v[38:39], v[64:65], s[24:25], -v[38:39]
	v_fma_f64 v[36:37], v[60:61], s[24:25], -v[36:37]
	v_fma_f64 v[58:59], v[58:59], s[16:17], v[0:1]
	v_fma_f64 v[34:35], v[70:71], s[8:9], v[32:33]
	v_fma_f64 v[42:43], v[48:49], s[22:23], -v[54:55]
	v_fma_f64 v[50:51], v[50:51], s[0:1], v[54:55]
	v_fma_f64 v[32:33], v[68:69], s[2:3], -v[62:63]
	v_fma_f64 v[66:67], v[66:67], s[16:17], v[2:3]
	v_fma_f64 v[48:49], v[72:73], s[8:9], v[38:39]
	;; [unrolled: 1-line block ×3, first 2 shown]
	v_add_f64 v[54:55], v[46:47], v[58:59]
	v_add_f64 v[40:41], v[40:41], v[58:59]
	;; [unrolled: 1-line block ×3, first 2 shown]
	v_fma_f64 v[32:33], v[72:73], s[8:9], v[32:33]
	v_add_f64 v[42:43], v[42:43], v[66:67]
	v_add_f64 v[50:51], v[50:51], v[66:67]
	;; [unrolled: 1-line block ×4, first 2 shown]
	v_add_f64 v[40:41], v[40:41], -v[48:49]
	v_fma_f64 v[48:49], v[64:65], s[18:19], v[62:63]
	v_add_f64 v[28:29], v[80:81], -v[32:33]
	v_add_f64 v[32:33], v[32:33], v[80:81]
	v_add_f64 v[38:39], v[42:43], -v[44:45]
	v_add_f64 v[42:43], v[44:45], v[42:43]
	v_fma_f64 v[44:45], v[60:61], s[18:19], v[74:75]
	v_add_f64 v[30:31], v[34:35], v[82:83]
	v_add_f64 v[34:35], v[82:83], -v[34:35]
	v_fma_f64 v[48:49], v[72:73], s[8:9], v[48:49]
	s_delay_alu instid0(VALU_DEP_4) | instskip(NEXT) | instid1(VALU_DEP_2)
	v_fma_f64 v[52:53], v[70:71], s[8:9], v[44:45]
	v_add_f64 v[44:45], v[48:49], v[54:55]
	v_add_f64 v[48:49], v[54:55], -v[48:49]
	s_delay_alu instid0(VALU_DEP_3)
	v_add_f64 v[46:47], v[50:51], -v[52:53]
	v_add_f64 v[50:51], v[52:53], v[50:51]
	scratch_load_b32 v52, off, off offset:756 ; 4-byte Folded Reload
	s_waitcnt vmcnt(0)
	ds_store_b128 v52, v[0:3]
	ds_store_b128 v52, v[44:47] offset:208
	ds_store_b128 v52, v[36:39] offset:416
	ds_store_b128 v52, v[28:31] offset:624
	ds_store_b128 v52, v[32:35] offset:832
	ds_store_b128 v52, v[40:43] offset:1040
	ds_store_b128 v52, v[48:51] offset:1248
	v_add_f64 v[28:29], v[6:7], v[26:27]
	v_add_f64 v[30:31], v[10:11], v[22:23]
	;; [unrolled: 1-line block ×5, first 2 shown]
	v_add_f64 v[10:11], v[10:11], -v[22:23]
	v_add_f64 v[14:15], v[18:19], -v[14:15]
	v_add_f64 v[40:41], v[12:13], v[16:17]
	v_add_f64 v[18:19], v[6:7], -v[26:27]
	v_add_f64 v[6:7], v[8:9], -v[20:21]
	;; [unrolled: 1-line block ×4, first 2 shown]
	v_add_f64 v[0:1], v[30:31], v[28:29]
	v_add_f64 v[20:21], v[30:31], -v[28:29]
	v_add_f64 v[22:23], v[32:33], -v[30:31]
	;; [unrolled: 1-line block ×7, first 2 shown]
	v_add_f64 v[4:5], v[14:15], v[10:11]
	v_add_f64 v[10:11], v[12:13], v[6:7]
	v_add_f64 v[44:45], v[6:7], -v[16:17]
	v_add_f64 v[34:35], v[32:33], v[0:1]
	v_add_f64 v[0:1], v[38:39], v[36:37]
	v_add_f64 v[32:33], v[36:37], -v[40:41]
	v_add_f64 v[38:39], v[12:13], -v[6:7]
	;; [unrolled: 1-line block ×3, first 2 shown]
	v_mul_f64 v[50:51], v[8:9], s[14:15]
	v_mul_f64 v[28:29], v[28:29], s[20:21]
	;; [unrolled: 1-line block ×3, first 2 shown]
	v_add_f64 v[46:47], v[4:5], v[18:19]
	v_mul_f64 v[4:5], v[22:23], s[0:1]
	v_mul_f64 v[14:15], v[44:45], s[2:3]
	v_add_f64 v[48:49], v[10:11], v[16:17]
	v_add_f64 v[42:43], v[40:41], v[0:1]
	v_add_f64 v[40:41], v[16:17], -v[12:13]
	v_mul_f64 v[12:13], v[30:31], s[2:3]
	v_add_f64 v[0:1], v[76:77], v[34:35]
	v_fma_f64 v[8:9], v[30:31], s[2:3], -v[50:51]
	v_mul_f64 v[30:31], v[32:33], s[20:21]
	v_fma_f64 v[16:17], v[20:21], s[22:23], -v[28:29]
	v_fma_f64 v[6:7], v[24:25], s[12:13], -v[6:7]
	v_fma_f64 v[4:5], v[20:21], s[12:13], -v[4:5]
	v_fma_f64 v[22:23], v[22:23], s[0:1], v[28:29]
	v_mul_f64 v[38:39], v[38:39], s[14:15]
	v_add_f64 v[2:3], v[78:79], v[42:43]
	v_fma_f64 v[14:15], v[40:41], s[24:25], -v[14:15]
	v_fma_f64 v[12:13], v[36:37], s[24:25], -v[12:13]
	v_fma_f64 v[34:35], v[34:35], s[16:17], v[0:1]
	v_fma_f64 v[10:11], v[46:47], s[8:9], v[8:9]
	v_fma_f64 v[18:19], v[24:25], s[22:23], -v[30:31]
	v_fma_f64 v[26:27], v[26:27], s[0:1], v[30:31]
	v_fma_f64 v[8:9], v[44:45], s[2:3], -v[38:39]
	v_fma_f64 v[42:43], v[42:43], s[16:17], v[2:3]
	v_fma_f64 v[24:25], v[48:49], s[8:9], v[14:15]
	;; [unrolled: 1-line block ×3, first 2 shown]
	v_add_f64 v[30:31], v[22:23], v[34:35]
	v_add_f64 v[16:17], v[16:17], v[34:35]
	;; [unrolled: 1-line block ×3, first 2 shown]
	v_fma_f64 v[8:9], v[48:49], s[8:9], v[8:9]
	v_add_f64 v[18:19], v[18:19], v[42:43]
	v_add_f64 v[26:27], v[26:27], v[42:43]
	;; [unrolled: 1-line block ×4, first 2 shown]
	v_add_f64 v[16:17], v[16:17], -v[24:25]
	v_fma_f64 v[24:25], v[40:41], s[18:19], v[38:39]
	v_add_f64 v[4:5], v[52:53], -v[8:9]
	v_add_f64 v[8:9], v[8:9], v[52:53]
	v_add_f64 v[14:15], v[18:19], -v[20:21]
	v_add_f64 v[18:19], v[20:21], v[18:19]
	v_fma_f64 v[20:21], v[36:37], s[18:19], v[50:51]
	v_add_f64 v[6:7], v[10:11], v[54:55]
	v_add_f64 v[10:11], v[54:55], -v[10:11]
	v_fma_f64 v[24:25], v[48:49], s[8:9], v[24:25]
	s_delay_alu instid0(VALU_DEP_4) | instskip(NEXT) | instid1(VALU_DEP_2)
	v_fma_f64 v[28:29], v[46:47], s[8:9], v[20:21]
	v_add_f64 v[20:21], v[24:25], v[30:31]
	v_add_f64 v[24:25], v[30:31], -v[24:25]
	s_delay_alu instid0(VALU_DEP_3)
	v_add_f64 v[22:23], v[26:27], -v[28:29]
	v_add_f64 v[26:27], v[28:29], v[26:27]
	scratch_load_b32 v28, off, off offset:736 ; 4-byte Folded Reload
	s_waitcnt vmcnt(0)
	ds_store_b128 v28, v[0:3]
	ds_store_b128 v28, v[20:23] offset:208
	ds_store_b128 v28, v[12:15] offset:416
	;; [unrolled: 1-line block ×6, first 2 shown]
	s_waitcnt lgkmcnt(0)
	s_barrier
	buffer_gl0_inv
	ds_load_b128 v[0:3], v138 offset:4368
	s_clause 0x4
	scratch_load_b128 v[12:15], off, off offset:716
	scratch_load_b128 v[20:23], off, off offset:668
	;; [unrolled: 1-line block ×5, first 2 shown]
	s_waitcnt lgkmcnt(0)
	v_mul_f64 v[4:5], v[146:147], v[2:3]
	s_delay_alu instid0(VALU_DEP_1) | instskip(SKIP_1) | instid1(VALU_DEP_1)
	v_fma_f64 v[40:41], v[144:145], v[0:1], v[4:5]
	v_mul_f64 v[0:1], v[146:147], v[0:1]
	v_fma_f64 v[42:43], v[144:145], v[2:3], -v[0:1]
	ds_load_b128 v[0:3], v138 offset:5824
	s_waitcnt lgkmcnt(0)
	v_mul_f64 v[4:5], v[146:147], v[2:3]
	s_delay_alu instid0(VALU_DEP_1) | instskip(SKIP_1) | instid1(VALU_DEP_1)
	v_fma_f64 v[4:5], v[144:145], v[0:1], v[4:5]
	v_mul_f64 v[0:1], v[146:147], v[0:1]
	v_fma_f64 v[6:7], v[144:145], v[2:3], -v[0:1]
	ds_load_b128 v[0:3], v138 offset:8736
	;; [unrolled: 7-line block ×4, first 2 shown]
	s_waitcnt lgkmcnt(0)
	v_mul_f64 v[8:9], v[170:171], v[2:3]
	s_delay_alu instid0(VALU_DEP_1) | instskip(SKIP_1) | instid1(VALU_DEP_2)
	v_fma_f64 v[60:61], v[168:169], v[0:1], v[8:9]
	v_mul_f64 v[0:1], v[170:171], v[0:1]
	v_add_f64 v[86:87], v[56:57], v[60:61]
	s_delay_alu instid0(VALU_DEP_2)
	v_fma_f64 v[62:63], v[168:169], v[2:3], -v[0:1]
	ds_load_b128 v[0:3], v138 offset:23296
	v_add_f64 v[56:57], v[56:57], -v[60:61]
	s_waitcnt lgkmcnt(0)
	v_mul_f64 v[8:9], v[170:171], v[2:3]
	v_add_f64 v[94:95], v[58:59], v[62:63]
	v_add_f64 v[58:59], v[58:59], -v[62:63]
	s_delay_alu instid0(VALU_DEP_3) | instskip(SKIP_1) | instid1(VALU_DEP_2)
	v_fma_f64 v[24:25], v[168:169], v[0:1], v[8:9]
	v_mul_f64 v[0:1], v[170:171], v[0:1]
	v_add_f64 v[102:103], v[16:17], v[24:25]
	s_delay_alu instid0(VALU_DEP_2)
	v_fma_f64 v[26:27], v[168:169], v[2:3], -v[0:1]
	ds_load_b128 v[0:3], v138 offset:26208
	v_add_f64 v[16:17], v[16:17], -v[24:25]
	s_waitcnt lgkmcnt(0)
	v_mul_f64 v[8:9], v[158:159], v[2:3]
	v_add_f64 v[112:113], v[18:19], v[26:27]
	v_add_f64 v[18:19], v[18:19], -v[26:27]
	s_delay_alu instid0(VALU_DEP_3) | instskip(SKIP_1) | instid1(VALU_DEP_2)
	v_fma_f64 v[64:65], v[156:157], v[0:1], v[8:9]
	v_mul_f64 v[0:1], v[158:159], v[0:1]
	v_add_f64 v[84:85], v[40:41], v[64:65]
	s_delay_alu instid0(VALU_DEP_2)
	v_fma_f64 v[66:67], v[156:157], v[2:3], -v[0:1]
	ds_load_b128 v[0:3], v138 offset:27664
	v_add_f64 v[62:63], v[40:41], -v[64:65]
	s_waitcnt lgkmcnt(0)
	v_mul_f64 v[8:9], v[158:159], v[2:3]
	v_add_f64 v[92:93], v[42:43], v[66:67]
	v_add_f64 v[66:67], v[42:43], -v[66:67]
	s_delay_alu instid0(VALU_DEP_3)
	v_fma_f64 v[28:29], v[156:157], v[0:1], v[8:9]
	v_mul_f64 v[0:1], v[158:159], v[0:1]
	ds_load_b128 v[8:11], v138 offset:7280
	v_add_f64 v[134:135], v[58:59], -v[66:67]
	v_add_f64 v[100:101], v[4:5], v[28:29]
	v_fma_f64 v[30:31], v[156:157], v[2:3], -v[0:1]
	s_waitcnt vmcnt(4) lgkmcnt(0)
	v_mul_f64 v[0:1], v[14:15], v[10:11]
	v_add_f64 v[26:27], v[4:5], -v[28:29]
	s_delay_alu instid0(VALU_DEP_3) | instskip(NEXT) | instid1(VALU_DEP_3)
	v_add_f64 v[110:111], v[6:7], v[30:31]
	v_fma_f64 v[2:3], v[12:13], v[8:9], v[0:1]
	v_mul_f64 v[0:1], v[14:15], v[8:9]
	v_add_f64 v[30:31], v[6:7], -v[30:31]
	s_delay_alu instid0(VALU_DEP_2) | instskip(SKIP_3) | instid1(VALU_DEP_1)
	v_fma_f64 v[0:1], v[12:13], v[10:11], -v[0:1]
	ds_load_b128 v[12:15], v138 offset:11648
	s_waitcnt vmcnt(3) lgkmcnt(0)
	v_mul_f64 v[8:9], v[22:23], v[14:15]
	v_fma_f64 v[10:11], v[20:21], v[12:13], v[8:9]
	v_mul_f64 v[8:9], v[22:23], v[12:13]
	s_delay_alu instid0(VALU_DEP_1) | instskip(SKIP_3) | instid1(VALU_DEP_1)
	v_fma_f64 v[8:9], v[20:21], v[14:15], -v[8:9]
	ds_load_b128 v[20:23], v138 offset:29120
	s_waitcnt vmcnt(1) lgkmcnt(0)
	v_mul_f64 v[12:13], v[34:35], v[22:23]
	v_fma_f64 v[14:15], v[32:33], v[20:21], v[12:13]
	v_mul_f64 v[12:13], v[34:35], v[20:21]
	s_delay_alu instid0(VALU_DEP_2) | instskip(NEXT) | instid1(VALU_DEP_2)
	v_add_f64 v[118:119], v[2:3], v[14:15]
	v_fma_f64 v[12:13], v[32:33], v[22:23], -v[12:13]
	ds_load_b128 v[32:35], v138 offset:24752
	v_add_f64 v[14:15], v[2:3], -v[14:15]
	s_waitcnt vmcnt(0) lgkmcnt(0)
	v_mul_f64 v[20:21], v[38:39], v[34:35]
	v_add_f64 v[126:127], v[0:1], v[12:13]
	v_add_f64 v[12:13], v[0:1], -v[12:13]
	s_delay_alu instid0(VALU_DEP_3) | instskip(SKIP_1) | instid1(VALU_DEP_2)
	v_fma_f64 v[22:23], v[36:37], v[32:33], v[20:21]
	v_mul_f64 v[20:21], v[38:39], v[32:33]
	v_add_f64 v[120:121], v[10:11], v[22:23]
	s_delay_alu instid0(VALU_DEP_2)
	v_fma_f64 v[20:21], v[36:37], v[34:35], -v[20:21]
	ds_load_b128 v[32:35], v138 offset:13104
	v_add_f64 v[10:11], v[10:11], -v[22:23]
	s_waitcnt lgkmcnt(0)
	v_mul_f64 v[36:37], v[166:167], v[34:35]
	v_add_f64 v[128:129], v[8:9], v[20:21]
	v_add_f64 v[2:3], v[8:9], -v[20:21]
	s_delay_alu instid0(VALU_DEP_3)
	v_fma_f64 v[68:69], v[164:165], v[32:33], v[36:37]
	v_mul_f64 v[32:33], v[166:167], v[32:33]
	ds_load_b128 v[36:39], v138 offset:14560
	v_fma_f64 v[70:71], v[164:165], v[34:35], -v[32:33]
	s_waitcnt lgkmcnt(0)
	v_mul_f64 v[32:33], v[166:167], v[38:39]
	s_delay_alu instid0(VALU_DEP_1) | instskip(SKIP_1) | instid1(VALU_DEP_1)
	v_fma_f64 v[34:35], v[164:165], v[36:37], v[32:33]
	v_mul_f64 v[32:33], v[166:167], v[36:37]
	v_fma_f64 v[32:33], v[164:165], v[38:39], -v[32:33]
	ds_load_b128 v[36:39], v138 offset:17472
	s_waitcnt lgkmcnt(0)
	v_mul_f64 v[44:45], v[162:163], v[38:39]
	s_delay_alu instid0(VALU_DEP_1)
	v_fma_f64 v[72:73], v[160:161], v[36:37], v[44:45]
	v_mul_f64 v[36:37], v[162:163], v[36:37]
	ds_load_b128 v[44:47], v138 offset:18928
	v_add_f64 v[88:89], v[68:69], v[72:73]
	v_fma_f64 v[74:75], v[160:161], v[38:39], -v[36:37]
	s_waitcnt lgkmcnt(0)
	v_mul_f64 v[36:37], v[162:163], v[46:47]
	v_add_f64 v[60:61], v[72:73], -v[68:69]
	v_add_f64 v[68:69], v[86:87], -v[84:85]
	;; [unrolled: 1-line block ×3, first 2 shown]
	v_add_f64 v[96:97], v[70:71], v[74:75]
	v_fma_f64 v[38:39], v[160:161], v[44:45], v[36:37]
	v_mul_f64 v[36:37], v[162:163], v[44:45]
	v_add_f64 v[42:43], v[60:61], -v[56:57]
	v_add_f64 v[64:65], v[74:75], -v[70:71]
	;; [unrolled: 1-line block ×3, first 2 shown]
	v_add_f64 v[40:41], v[60:61], v[56:57]
	v_add_f64 v[74:75], v[96:97], -v[94:95]
	v_add_f64 v[106:107], v[34:35], v[38:39]
	v_fma_f64 v[36:37], v[160:161], v[46:47], -v[36:37]
	ds_load_b128 v[44:47], v138 offset:16016
	v_mul_f64 v[136:137], v[42:43], s[14:15]
	v_add_f64 v[24:25], v[38:39], -v[34:35]
	v_add_f64 v[141:142], v[40:41], v[62:63]
	v_mul_f64 v[40:41], v[70:71], s[0:1]
	s_waitcnt lgkmcnt(0)
	v_mul_f64 v[48:49], v[52:53], v[46:47]
	v_mul_f64 v[42:43], v[74:75], s[0:1]
	v_add_f64 v[34:35], v[106:107], -v[102:103]
	v_add_f64 v[114:115], v[32:33], v[36:37]
	v_add_f64 v[28:29], v[36:37], -v[32:33]
	v_add_f64 v[32:33], v[102:103], -v[100:101]
	v_add_f64 v[4:5], v[24:25], v[16:17]
	v_add_f64 v[6:7], v[24:25], -v[16:17]
	v_fma_f64 v[40:41], v[68:69], s[12:13], -v[40:41]
	v_add_f64 v[36:37], v[112:113], -v[110:111]
	v_fma_f64 v[76:77], v[50:51], v[44:45], v[48:49]
	v_mul_f64 v[44:45], v[52:53], v[44:45]
	v_fma_f64 v[42:43], v[72:73], s[12:13], -v[42:43]
	v_add_f64 v[38:39], v[114:115], -v[112:113]
	s_delay_alu instid0(VALU_DEP_3) | instskip(SKIP_4) | instid1(VALU_DEP_1)
	v_fma_f64 v[78:79], v[50:51], v[46:47], -v[44:45]
	scratch_load_b128 v[50:53], off, off offset:652 ; 16-byte Folded Reload
	ds_load_b128 v[44:47], v138 offset:20384
	s_waitcnt vmcnt(0) lgkmcnt(0)
	v_mul_f64 v[48:49], v[52:53], v[46:47]
	v_fma_f64 v[80:81], v[50:51], v[44:45], v[48:49]
	v_mul_f64 v[44:45], v[52:53], v[44:45]
	v_add_f64 v[48:49], v[102:103], v[100:101]
	v_add_f64 v[100:101], v[100:101], -v[106:107]
	v_add_f64 v[52:53], v[120:121], v[118:119]
	v_add_f64 v[122:123], v[76:77], v[80:81]
	v_fma_f64 v[82:83], v[50:51], v[46:47], -v[44:45]
	v_add_f64 v[44:45], v[86:87], v[84:85]
	v_add_f64 v[108:109], v[106:107], v[48:49]
	;; [unrolled: 1-line block ×3, first 2 shown]
	v_add_f64 v[86:87], v[56:57], -v[62:63]
	v_add_f64 v[84:85], v[84:85], -v[88:89]
	;; [unrolled: 1-line block ×7, first 2 shown]
	v_add_f64 v[124:125], v[122:123], v[52:53]
	v_add_f64 v[130:131], v[78:79], v[82:83]
	;; [unrolled: 1-line block ×4, first 2 shown]
	v_add_f64 v[88:89], v[92:93], -v[96:97]
	v_add_f64 v[116:117], v[114:115], v[48:49]
	ds_load_b128 v[48:51], v138 offset:1456
	v_add_f64 v[94:95], v[64:65], v[58:59]
	v_fma_f64 v[58:59], v[86:87], s[2:3], -v[136:137]
	v_add_f64 v[92:93], v[62:63], -v[60:61]
	v_mul_f64 v[62:63], v[86:87], s[2:3]
	v_mul_f64 v[60:61], v[134:135], s[2:3]
	;; [unrolled: 1-line block ×4, first 2 shown]
	v_add_f64 v[52:53], v[128:129], v[126:127]
	v_add_f64 v[20:21], v[82:83], -v[78:79]
	v_add_f64 v[8:9], v[22:23], -v[10:11]
	;; [unrolled: 1-line block ×3, first 2 shown]
	v_add_f64 v[0:1], v[22:23], v[10:11]
	s_waitcnt lgkmcnt(0)
	v_add_f64 v[48:49], v[48:49], v[108:109]
	v_add_f64 v[82:83], v[130:131], -v[128:129]
	v_add_f64 v[98:99], v[96:97], v[44:45]
	ds_load_b128 v[44:47], v138
	v_mul_f64 v[86:87], v[88:89], s[20:21]
	v_add_f64 v[96:97], v[66:67], -v[64:65]
	v_add_f64 v[94:95], v[94:95], v[66:67]
	v_add_f64 v[88:89], v[18:19], -v[30:31]
	v_add_f64 v[50:51], v[50:51], v[116:117]
	v_fma_f64 v[62:63], v[92:93], s[24:25], -v[62:63]
	v_fma_f64 v[58:59], v[141:142], s[8:9], v[58:59]
	v_fma_f64 v[64:65], v[68:69], s[22:23], -v[84:85]
	v_fma_f64 v[70:71], v[70:71], s[0:1], v[84:85]
	v_fma_f64 v[56:57], v[134:135], s[2:3], -v[139:140]
	v_add_f64 v[132:133], v[130:131], v[52:53]
	ds_load_b128 v[52:55], v138 offset:2912
	s_waitcnt lgkmcnt(0)
	s_barrier
	buffer_gl0_inv
	v_add_f64 v[44:45], v[44:45], v[90:91]
	v_add_f64 v[52:53], v[52:53], v[124:125]
	;; [unrolled: 1-line block ×3, first 2 shown]
	v_fma_f64 v[66:67], v[72:73], s[22:23], -v[86:87]
	v_fma_f64 v[60:61], v[96:97], s[24:25], -v[60:61]
	v_fma_f64 v[74:75], v[74:75], s[0:1], v[86:87]
	v_mul_f64 v[24:25], v[88:89], s[2:3]
	v_fma_f64 v[72:73], v[141:142], s[8:9], v[62:63]
	v_fma_f64 v[56:57], v[94:95], s[8:9], v[56:57]
	v_add_f64 v[54:55], v[54:55], v[132:133]
	v_fma_f64 v[90:91], v[90:91], s[16:17], v[44:45]
	v_fma_f64 v[98:99], v[98:99], s[16:17], v[46:47]
	;; [unrolled: 1-line block ×3, first 2 shown]
	s_delay_alu instid0(VALU_DEP_3) | instskip(SKIP_1) | instid1(VALU_DEP_4)
	v_add_f64 v[64:65], v[64:65], v[90:91]
	v_add_f64 v[143:144], v[40:41], v[90:91]
	;; [unrolled: 1-line block ×5, first 2 shown]
	v_fma_f64 v[98:99], v[116:117], s[16:17], v[50:51]
	v_add_f64 v[60:61], v[68:69], v[64:65]
	v_add_f64 v[64:65], v[64:65], -v[68:69]
	v_fma_f64 v[68:69], v[96:97], s[18:19], v[139:140]
	v_fma_f64 v[96:97], v[108:109], s[16:17], v[48:49]
	v_add_f64 v[40:41], v[143:144], -v[56:57]
	v_add_f64 v[56:57], v[56:57], v[143:144]
	v_add_f64 v[62:63], v[66:67], -v[72:73]
	v_add_f64 v[66:67], v[72:73], v[66:67]
	v_fma_f64 v[72:73], v[92:93], s[18:19], v[136:137]
	v_add_f64 v[42:43], v[58:59], v[145:146]
	v_add_f64 v[58:59], v[145:146], -v[58:59]
	v_fma_f64 v[84:85], v[94:95], s[8:9], v[68:69]
	v_mul_f64 v[94:95], v[6:7], s[14:15]
	v_mul_f64 v[6:7], v[38:39], s[0:1]
	v_fma_f64 v[86:87], v[141:142], s[8:9], v[72:73]
	v_add_f64 v[72:73], v[70:71], v[90:91]
	v_add_f64 v[90:91], v[4:5], v[26:27]
	v_mul_f64 v[4:5], v[34:35], s[0:1]
	v_fma_f64 v[6:7], v[36:37], s[12:13], -v[6:7]
	v_add_f64 v[70:71], v[74:75], -v[86:87]
	v_add_f64 v[74:75], v[86:87], v[74:75]
	v_add_f64 v[86:87], v[28:29], -v[18:19]
	v_add_f64 v[68:69], v[84:85], v[72:73]
	v_add_f64 v[72:73], v[72:73], -v[84:85]
	v_add_f64 v[84:85], v[16:17], -v[26:27]
	v_add_f64 v[16:17], v[28:29], v[18:19]
	v_fma_f64 v[4:5], v[32:33], s[12:13], -v[4:5]
	v_add_f64 v[108:109], v[6:7], v[98:99]
	v_mul_f64 v[86:87], v[86:87], s[14:15]
	v_fma_f64 v[18:19], v[84:85], s[2:3], -v[94:95]
	v_add_f64 v[92:93], v[16:17], v[30:31]
	v_add_f64 v[102:103], v[4:5], v[96:97]
	v_mul_f64 v[26:27], v[84:85], s[2:3]
	v_mul_f64 v[84:85], v[100:101], s[20:21]
	v_fma_f64 v[16:17], v[88:89], s[2:3], -v[86:87]
	v_fma_f64 v[18:19], v[90:91], s[8:9], v[18:19]
	s_delay_alu instid0(VALU_DEP_4) | instskip(NEXT) | instid1(VALU_DEP_4)
	v_fma_f64 v[26:27], v[106:107], s[24:25], -v[26:27]
	v_fma_f64 v[34:35], v[34:35], s[0:1], v[84:85]
	s_delay_alu instid0(VALU_DEP_4) | instskip(NEXT) | instid1(VALU_DEP_4)
	v_fma_f64 v[16:17], v[92:93], s[8:9], v[16:17]
	v_add_f64 v[6:7], v[18:19], v[108:109]
	v_add_f64 v[18:19], v[108:109], -v[18:19]
	v_add_f64 v[108:109], v[30:31], -v[28:29]
	v_fma_f64 v[28:29], v[32:33], s[22:23], -v[84:85]
	v_add_f64 v[4:5], v[102:103], -v[16:17]
	v_add_f64 v[16:17], v[16:17], v[102:103]
	v_add_f64 v[102:103], v[110:111], -v[114:115]
	v_fma_f64 v[24:25], v[108:109], s[24:25], -v[24:25]
	v_add_f64 v[28:29], v[28:29], v[96:97]
	s_delay_alu instid0(VALU_DEP_3) | instskip(NEXT) | instid1(VALU_DEP_3)
	v_mul_f64 v[88:89], v[102:103], s[20:21]
	v_fma_f64 v[32:33], v[92:93], s[8:9], v[24:25]
	s_delay_alu instid0(VALU_DEP_2) | instskip(SKIP_2) | instid1(VALU_DEP_4)
	v_fma_f64 v[30:31], v[36:37], s[22:23], -v[88:89]
	v_fma_f64 v[36:37], v[90:91], s[8:9], v[26:27]
	v_fma_f64 v[38:39], v[38:39], s[0:1], v[88:89]
	v_add_f64 v[24:25], v[32:33], v[28:29]
	v_add_f64 v[28:29], v[28:29], -v[32:33]
	v_fma_f64 v[32:33], v[108:109], s[18:19], v[86:87]
	v_add_f64 v[88:89], v[2:3], -v[12:13]
	v_add_f64 v[108:109], v[12:13], -v[20:21]
	v_add_f64 v[30:31], v[30:31], v[98:99]
	v_add_f64 v[38:39], v[38:39], v[98:99]
	v_fma_f64 v[98:99], v[132:133], s[16:17], v[54:55]
	v_fma_f64 v[84:85], v[92:93], s[8:9], v[32:33]
	s_delay_alu instid0(VALU_DEP_4) | instskip(SKIP_4) | instid1(VALU_DEP_3)
	v_add_f64 v[26:27], v[30:31], -v[36:37]
	v_add_f64 v[30:31], v[36:37], v[30:31]
	v_fma_f64 v[36:37], v[106:107], s[18:19], v[94:95]
	v_mul_f64 v[94:95], v[8:9], s[14:15]
	v_add_f64 v[106:107], v[14:15], -v[22:23]
	v_fma_f64 v[86:87], v[90:91], s[8:9], v[36:37]
	v_add_f64 v[36:37], v[34:35], v[96:97]
	v_add_f64 v[90:91], v[0:1], v[14:15]
	v_mul_f64 v[0:1], v[78:79], s[0:1]
	v_fma_f64 v[96:97], v[124:125], s[16:17], v[52:53]
	v_add_f64 v[34:35], v[38:39], -v[86:87]
	v_add_f64 v[32:33], v[84:85], v[36:37]
	v_add_f64 v[36:37], v[36:37], -v[84:85]
	v_add_f64 v[38:39], v[86:87], v[38:39]
	v_add_f64 v[84:85], v[10:11], -v[14:15]
	v_add_f64 v[86:87], v[20:21], -v[2:3]
	v_add_f64 v[10:11], v[20:21], v[2:3]
	v_mul_f64 v[2:3], v[82:83], s[0:1]
	v_fma_f64 v[0:1], v[76:77], s[12:13], -v[0:1]
	ds_store_b128 v138, v[44:47]
	ds_store_b128 v138, v[68:71] offset:1456
	ds_store_b128 v138, v[60:63] offset:2912
	;; [unrolled: 1-line block ×13, first 2 shown]
	scratch_load_b32 v4, off, off offset:808 ; 4-byte Folded Reload
	v_fma_f64 v[8:9], v[84:85], s[2:3], -v[94:95]
	v_mul_f64 v[86:87], v[86:87], s[14:15]
	v_add_f64 v[92:93], v[10:11], v[12:13]
	v_fma_f64 v[2:3], v[80:81], s[12:13], -v[2:3]
	v_add_f64 v[100:101], v[0:1], v[96:97]
	v_mul_f64 v[12:13], v[88:89], s[2:3]
	v_mul_f64 v[14:15], v[84:85], s[2:3]
	v_fma_f64 v[10:11], v[90:91], s[8:9], v[8:9]
	v_fma_f64 v[8:9], v[88:89], s[2:3], -v[86:87]
	s_mov_b32 s3, 0x3febb67a
	v_add_f64 v[102:103], v[2:3], v[98:99]
	v_fma_f64 v[12:13], v[108:109], s[24:25], -v[12:13]
	v_fma_f64 v[14:15], v[106:107], s[24:25], -v[14:15]
	s_delay_alu instid0(VALU_DEP_4) | instskip(NEXT) | instid1(VALU_DEP_4)
	v_fma_f64 v[8:9], v[92:93], s[8:9], v[8:9]
	v_add_f64 v[2:3], v[10:11], v[102:103]
	v_add_f64 v[10:11], v[102:103], -v[10:11]
	v_add_f64 v[102:103], v[126:127], -v[130:131]
	s_delay_alu instid0(VALU_DEP_4) | instskip(SKIP_2) | instid1(VALU_DEP_4)
	v_add_f64 v[0:1], v[100:101], -v[8:9]
	v_add_f64 v[8:9], v[8:9], v[100:101]
	v_add_f64 v[100:101], v[118:119], -v[122:123]
	v_mul_f64 v[102:103], v[102:103], s[20:21]
	s_delay_alu instid0(VALU_DEP_2) | instskip(NEXT) | instid1(VALU_DEP_2)
	v_mul_f64 v[100:101], v[100:101], s[20:21]
	v_fma_f64 v[22:23], v[80:81], s[22:23], -v[102:103]
	v_fma_f64 v[80:81], v[90:91], s[8:9], v[14:15]
	s_delay_alu instid0(VALU_DEP_3) | instskip(SKIP_1) | instid1(VALU_DEP_4)
	v_fma_f64 v[20:21], v[76:77], s[22:23], -v[100:101]
	v_fma_f64 v[76:77], v[92:93], s[8:9], v[12:13]
	v_add_f64 v[22:23], v[22:23], v[98:99]
	s_delay_alu instid0(VALU_DEP_3) | instskip(NEXT) | instid1(VALU_DEP_2)
	v_add_f64 v[20:21], v[20:21], v[96:97]
	v_add_f64 v[14:15], v[22:23], -v[80:81]
	v_add_f64 v[22:23], v[80:81], v[22:23]
	v_fma_f64 v[80:81], v[108:109], s[18:19], v[86:87]
	s_delay_alu instid0(VALU_DEP_4)
	v_add_f64 v[12:13], v[76:77], v[20:21]
	v_add_f64 v[20:21], v[20:21], -v[76:77]
	v_fma_f64 v[76:77], v[78:79], s[0:1], v[100:101]
	v_fma_f64 v[78:79], v[82:83], s[0:1], v[102:103]
	;; [unrolled: 1-line block ×4, first 2 shown]
	s_mov_b32 s0, 0xe8584caa
	s_mov_b32 s1, 0xbfebb67a
	;; [unrolled: 1-line block ×3, first 2 shown]
	s_delay_alu instid0(VALU_DEP_4) | instskip(NEXT) | instid1(VALU_DEP_4)
	v_add_f64 v[84:85], v[76:77], v[96:97]
	v_add_f64 v[86:87], v[78:79], v[98:99]
	s_delay_alu instid0(VALU_DEP_4) | instskip(NEXT) | instid1(VALU_DEP_3)
	v_fma_f64 v[82:83], v[90:91], s[8:9], v[82:83]
	v_add_f64 v[76:77], v[80:81], v[84:85]
	v_add_f64 v[80:81], v[84:85], -v[80:81]
	s_delay_alu instid0(VALU_DEP_3)
	v_add_f64 v[78:79], v[86:87], -v[82:83]
	v_add_f64 v[82:83], v[82:83], v[86:87]
	s_waitcnt vmcnt(0)
	ds_store_b128 v4, v[52:55] offset:20384
	ds_store_b128 v4, v[76:79] offset:21840
	;; [unrolled: 1-line block ×7, first 2 shown]
	s_waitcnt lgkmcnt(0)
	s_barrier
	buffer_gl0_inv
	s_clause 0x3
	scratch_load_b128 v[6:9], off, off offset:740
	scratch_load_b128 v[10:13], off, off offset:760
	;; [unrolled: 1-line block ×4, first 2 shown]
	ds_load_b128 v[0:3], v138 offset:10192
	s_waitcnt vmcnt(3) lgkmcnt(0)
	v_mul_f64 v[4:5], v[8:9], v[2:3]
	s_delay_alu instid0(VALU_DEP_1) | instskip(SKIP_1) | instid1(VALU_DEP_1)
	v_fma_f64 v[4:5], v[6:7], v[0:1], v[4:5]
	v_mul_f64 v[0:1], v[8:9], v[0:1]
	v_fma_f64 v[6:7], v[6:7], v[2:3], -v[0:1]
	ds_load_b128 v[0:3], v138 offset:20384
	s_waitcnt vmcnt(2) lgkmcnt(0)
	v_mul_f64 v[8:9], v[12:13], v[2:3]
	s_delay_alu instid0(VALU_DEP_1) | instskip(SKIP_1) | instid1(VALU_DEP_1)
	v_fma_f64 v[8:9], v[10:11], v[0:1], v[8:9]
	v_mul_f64 v[0:1], v[12:13], v[0:1]
	v_fma_f64 v[10:11], v[10:11], v[2:3], -v[0:1]
	ds_load_b128 v[0:3], v138 offset:11648
	s_waitcnt vmcnt(1) lgkmcnt(0)
	v_mul_f64 v[12:13], v[20:21], v[2:3]
	v_add_f64 v[14:15], v[6:7], v[10:11]
	s_delay_alu instid0(VALU_DEP_2) | instskip(SKIP_1) | instid1(VALU_DEP_1)
	v_fma_f64 v[16:17], v[18:19], v[0:1], v[12:13]
	v_mul_f64 v[0:1], v[20:21], v[0:1]
	v_fma_f64 v[18:19], v[18:19], v[2:3], -v[0:1]
	ds_load_b128 v[0:3], v138 offset:21840
	s_waitcnt vmcnt(0) lgkmcnt(0)
	v_mul_f64 v[12:13], v[24:25], v[2:3]
	s_delay_alu instid0(VALU_DEP_1) | instskip(SKIP_1) | instid1(VALU_DEP_2)
	v_fma_f64 v[20:21], v[22:23], v[0:1], v[12:13]
	v_mul_f64 v[0:1], v[24:25], v[0:1]
	v_add_f64 v[24:25], v[16:17], v[20:21]
	s_delay_alu instid0(VALU_DEP_2) | instskip(SKIP_4) | instid1(VALU_DEP_2)
	v_fma_f64 v[22:23], v[22:23], v[2:3], -v[0:1]
	ds_load_b128 v[0:3], v138 offset:13104
	s_waitcnt lgkmcnt(0)
	v_mul_f64 v[12:13], v[210:211], v[2:3]
	v_add_f64 v[26:27], v[18:19], v[22:23]
	v_fma_f64 v[28:29], v[208:209], v[0:1], v[12:13]
	v_mul_f64 v[0:1], v[210:211], v[0:1]
	s_delay_alu instid0(VALU_DEP_1) | instskip(SKIP_3) | instid1(VALU_DEP_1)
	v_fma_f64 v[30:31], v[208:209], v[2:3], -v[0:1]
	ds_load_b128 v[0:3], v138 offset:23296
	s_waitcnt lgkmcnt(0)
	v_mul_f64 v[12:13], v[214:215], v[2:3]
	v_fma_f64 v[32:33], v[212:213], v[0:1], v[12:13]
	v_mul_f64 v[0:1], v[214:215], v[0:1]
	s_delay_alu instid0(VALU_DEP_2) | instskip(NEXT) | instid1(VALU_DEP_2)
	v_add_f64 v[36:37], v[28:29], v[32:33]
	v_fma_f64 v[34:35], v[212:213], v[2:3], -v[0:1]
	ds_load_b128 v[0:3], v138 offset:14560
	s_waitcnt lgkmcnt(0)
	v_mul_f64 v[12:13], v[218:219], v[2:3]
	v_add_f64 v[38:39], v[30:31], v[34:35]
	s_delay_alu instid0(VALU_DEP_2) | instskip(SKIP_1) | instid1(VALU_DEP_1)
	v_fma_f64 v[40:41], v[216:217], v[0:1], v[12:13]
	v_mul_f64 v[0:1], v[218:219], v[0:1]
	v_fma_f64 v[42:43], v[216:217], v[2:3], -v[0:1]
	ds_load_b128 v[0:3], v138 offset:24752
	s_waitcnt lgkmcnt(0)
	v_mul_f64 v[12:13], v[222:223], v[2:3]
	s_delay_alu instid0(VALU_DEP_1) | instskip(SKIP_1) | instid1(VALU_DEP_2)
	v_fma_f64 v[44:45], v[220:221], v[0:1], v[12:13]
	v_mul_f64 v[0:1], v[222:223], v[0:1]
	v_add_f64 v[48:49], v[40:41], v[44:45]
	s_delay_alu instid0(VALU_DEP_2) | instskip(SKIP_4) | instid1(VALU_DEP_2)
	v_fma_f64 v[46:47], v[220:221], v[2:3], -v[0:1]
	ds_load_b128 v[0:3], v138 offset:16016
	s_waitcnt lgkmcnt(0)
	v_mul_f64 v[12:13], v[226:227], v[2:3]
	v_add_f64 v[50:51], v[42:43], v[46:47]
	v_fma_f64 v[52:53], v[224:225], v[0:1], v[12:13]
	v_mul_f64 v[0:1], v[226:227], v[0:1]
	s_delay_alu instid0(VALU_DEP_1) | instskip(SKIP_3) | instid1(VALU_DEP_1)
	v_fma_f64 v[54:55], v[224:225], v[2:3], -v[0:1]
	ds_load_b128 v[0:3], v138 offset:26208
	s_waitcnt lgkmcnt(0)
	v_mul_f64 v[12:13], v[230:231], v[2:3]
	v_fma_f64 v[56:57], v[228:229], v[0:1], v[12:13]
	v_mul_f64 v[0:1], v[230:231], v[0:1]
	s_delay_alu instid0(VALU_DEP_2) | instskip(NEXT) | instid1(VALU_DEP_2)
	v_add_f64 v[60:61], v[52:53], v[56:57]
	v_fma_f64 v[58:59], v[228:229], v[2:3], -v[0:1]
	ds_load_b128 v[0:3], v138 offset:17472
	s_waitcnt lgkmcnt(0)
	v_mul_f64 v[12:13], v[234:235], v[2:3]
	v_add_f64 v[62:63], v[54:55], v[58:59]
	s_delay_alu instid0(VALU_DEP_2) | instskip(SKIP_1) | instid1(VALU_DEP_1)
	v_fma_f64 v[64:65], v[232:233], v[0:1], v[12:13]
	v_mul_f64 v[0:1], v[234:235], v[0:1]
	v_fma_f64 v[66:67], v[232:233], v[2:3], -v[0:1]
	ds_load_b128 v[0:3], v138 offset:27664
	s_waitcnt lgkmcnt(0)
	v_mul_f64 v[12:13], v[238:239], v[2:3]
	s_delay_alu instid0(VALU_DEP_1) | instskip(SKIP_1) | instid1(VALU_DEP_2)
	v_fma_f64 v[68:69], v[236:237], v[0:1], v[12:13]
	v_mul_f64 v[0:1], v[238:239], v[0:1]
	v_add_f64 v[72:73], v[64:65], v[68:69]
	s_delay_alu instid0(VALU_DEP_2) | instskip(SKIP_4) | instid1(VALU_DEP_2)
	v_fma_f64 v[70:71], v[236:237], v[2:3], -v[0:1]
	ds_load_b128 v[0:3], v138 offset:18928
	s_waitcnt lgkmcnt(0)
	v_mul_f64 v[12:13], v[242:243], v[2:3]
	v_add_f64 v[74:75], v[66:67], v[70:71]
	v_fma_f64 v[76:77], v[240:241], v[0:1], v[12:13]
	v_mul_f64 v[0:1], v[242:243], v[0:1]
	s_delay_alu instid0(VALU_DEP_1) | instskip(SKIP_3) | instid1(VALU_DEP_1)
	v_fma_f64 v[78:79], v[240:241], v[2:3], -v[0:1]
	ds_load_b128 v[0:3], v138 offset:29120
	s_waitcnt lgkmcnt(0)
	v_mul_f64 v[12:13], v[246:247], v[2:3]
	v_fma_f64 v[80:81], v[244:245], v[0:1], v[12:13]
	v_mul_f64 v[0:1], v[246:247], v[0:1]
	v_add_f64 v[12:13], v[4:5], v[8:9]
	s_delay_alu instid0(VALU_DEP_3) | instskip(NEXT) | instid1(VALU_DEP_3)
	v_add_f64 v[84:85], v[76:77], v[80:81]
	v_fma_f64 v[82:83], v[244:245], v[2:3], -v[0:1]
	ds_load_b128 v[0:3], v138
	s_waitcnt lgkmcnt(0)
	v_fma_f64 v[14:15], v[14:15], -0.5, v[2:3]
	v_add_f64 v[2:3], v[2:3], v[6:7]
	v_fma_f64 v[12:13], v[12:13], -0.5, v[0:1]
	v_add_f64 v[0:1], v[0:1], v[4:5]
	v_add_f64 v[6:7], v[6:7], -v[10:11]
	v_add_f64 v[86:87], v[78:79], v[82:83]
	v_add_f64 v[2:3], v[2:3], v[10:11]
	v_add_f64 v[10:11], v[4:5], -v[8:9]
	v_add_f64 v[0:1], v[0:1], v[8:9]
	v_fma_f64 v[4:5], v[6:7], s[0:1], v[12:13]
	v_fma_f64 v[8:9], v[6:7], s[2:3], v[12:13]
	s_delay_alu instid0(VALU_DEP_4)
	v_fma_f64 v[6:7], v[10:11], s[2:3], v[14:15]
	v_fma_f64 v[10:11], v[10:11], s[0:1], v[14:15]
	ds_load_b128 v[12:15], v138 offset:1456
	s_waitcnt lgkmcnt(0)
	v_fma_f64 v[26:27], v[26:27], -0.5, v[14:15]
	v_add_f64 v[14:15], v[14:15], v[18:19]
	v_fma_f64 v[24:25], v[24:25], -0.5, v[12:13]
	v_add_f64 v[12:13], v[12:13], v[16:17]
	v_add_f64 v[18:19], v[18:19], -v[22:23]
	s_delay_alu instid0(VALU_DEP_4) | instskip(SKIP_1) | instid1(VALU_DEP_4)
	v_add_f64 v[14:15], v[14:15], v[22:23]
	v_add_f64 v[22:23], v[16:17], -v[20:21]
	v_add_f64 v[12:13], v[12:13], v[20:21]
	s_delay_alu instid0(VALU_DEP_4) | instskip(SKIP_1) | instid1(VALU_DEP_4)
	v_fma_f64 v[16:17], v[18:19], s[0:1], v[24:25]
	v_fma_f64 v[20:21], v[18:19], s[2:3], v[24:25]
	v_fma_f64 v[18:19], v[22:23], s[2:3], v[26:27]
	v_fma_f64 v[22:23], v[22:23], s[0:1], v[26:27]
	ds_load_b128 v[24:27], v138 offset:2912
	s_waitcnt lgkmcnt(0)
	v_fma_f64 v[38:39], v[38:39], -0.5, v[26:27]
	v_add_f64 v[26:27], v[26:27], v[30:31]
	v_fma_f64 v[36:37], v[36:37], -0.5, v[24:25]
	v_add_f64 v[24:25], v[24:25], v[28:29]
	v_add_f64 v[30:31], v[30:31], -v[34:35]
	s_delay_alu instid0(VALU_DEP_4) | instskip(SKIP_1) | instid1(VALU_DEP_4)
	v_add_f64 v[26:27], v[26:27], v[34:35]
	v_add_f64 v[34:35], v[28:29], -v[32:33]
	v_add_f64 v[24:25], v[24:25], v[32:33]
	s_delay_alu instid0(VALU_DEP_4) | instskip(SKIP_1) | instid1(VALU_DEP_4)
	v_fma_f64 v[28:29], v[30:31], s[0:1], v[36:37]
	v_fma_f64 v[32:33], v[30:31], s[2:3], v[36:37]
	v_fma_f64 v[30:31], v[34:35], s[2:3], v[38:39]
	v_fma_f64 v[34:35], v[34:35], s[0:1], v[38:39]
	ds_load_b128 v[36:39], v138 offset:4368
	s_waitcnt lgkmcnt(0)
	v_fma_f64 v[50:51], v[50:51], -0.5, v[38:39]
	v_add_f64 v[38:39], v[38:39], v[42:43]
	v_fma_f64 v[48:49], v[48:49], -0.5, v[36:37]
	v_add_f64 v[36:37], v[36:37], v[40:41]
	v_add_f64 v[42:43], v[42:43], -v[46:47]
	s_delay_alu instid0(VALU_DEP_4) | instskip(SKIP_1) | instid1(VALU_DEP_4)
	v_add_f64 v[38:39], v[38:39], v[46:47]
	v_add_f64 v[46:47], v[40:41], -v[44:45]
	v_add_f64 v[36:37], v[36:37], v[44:45]
	s_delay_alu instid0(VALU_DEP_4) | instskip(SKIP_1) | instid1(VALU_DEP_4)
	v_fma_f64 v[40:41], v[42:43], s[0:1], v[48:49]
	v_fma_f64 v[44:45], v[42:43], s[2:3], v[48:49]
	v_fma_f64 v[42:43], v[46:47], s[2:3], v[50:51]
	v_fma_f64 v[46:47], v[46:47], s[0:1], v[50:51]
	ds_load_b128 v[48:51], v138 offset:5824
	s_waitcnt lgkmcnt(0)
	v_fma_f64 v[62:63], v[62:63], -0.5, v[50:51]
	v_add_f64 v[50:51], v[50:51], v[54:55]
	v_fma_f64 v[60:61], v[60:61], -0.5, v[48:49]
	v_add_f64 v[48:49], v[48:49], v[52:53]
	v_add_f64 v[54:55], v[54:55], -v[58:59]
	s_delay_alu instid0(VALU_DEP_4) | instskip(SKIP_1) | instid1(VALU_DEP_4)
	v_add_f64 v[50:51], v[50:51], v[58:59]
	v_add_f64 v[58:59], v[52:53], -v[56:57]
	v_add_f64 v[48:49], v[48:49], v[56:57]
	s_delay_alu instid0(VALU_DEP_4) | instskip(SKIP_1) | instid1(VALU_DEP_4)
	v_fma_f64 v[52:53], v[54:55], s[0:1], v[60:61]
	v_fma_f64 v[56:57], v[54:55], s[2:3], v[60:61]
	v_fma_f64 v[54:55], v[58:59], s[2:3], v[62:63]
	v_fma_f64 v[58:59], v[58:59], s[0:1], v[62:63]
	ds_load_b128 v[60:63], v138 offset:7280
	s_waitcnt lgkmcnt(0)
	v_fma_f64 v[74:75], v[74:75], -0.5, v[62:63]
	v_add_f64 v[62:63], v[62:63], v[66:67]
	v_fma_f64 v[72:73], v[72:73], -0.5, v[60:61]
	v_add_f64 v[60:61], v[60:61], v[64:65]
	v_add_f64 v[66:67], v[66:67], -v[70:71]
	s_delay_alu instid0(VALU_DEP_4) | instskip(SKIP_1) | instid1(VALU_DEP_4)
	v_add_f64 v[62:63], v[62:63], v[70:71]
	v_add_f64 v[70:71], v[64:65], -v[68:69]
	v_add_f64 v[60:61], v[60:61], v[68:69]
	s_delay_alu instid0(VALU_DEP_4) | instskip(SKIP_1) | instid1(VALU_DEP_4)
	v_fma_f64 v[64:65], v[66:67], s[0:1], v[72:73]
	v_fma_f64 v[68:69], v[66:67], s[2:3], v[72:73]
	v_fma_f64 v[66:67], v[70:71], s[2:3], v[74:75]
	v_fma_f64 v[70:71], v[70:71], s[0:1], v[74:75]
	ds_load_b128 v[72:75], v138 offset:8736
	s_waitcnt lgkmcnt(0)
	v_fma_f64 v[86:87], v[86:87], -0.5, v[74:75]
	v_add_f64 v[74:75], v[74:75], v[78:79]
	v_fma_f64 v[84:85], v[84:85], -0.5, v[72:73]
	v_add_f64 v[72:73], v[72:73], v[76:77]
	v_add_f64 v[78:79], v[78:79], -v[82:83]
	s_delay_alu instid0(VALU_DEP_4) | instskip(SKIP_1) | instid1(VALU_DEP_4)
	v_add_f64 v[74:75], v[74:75], v[82:83]
	v_add_f64 v[82:83], v[76:77], -v[80:81]
	v_add_f64 v[72:73], v[72:73], v[80:81]
	s_delay_alu instid0(VALU_DEP_4) | instskip(SKIP_1) | instid1(VALU_DEP_4)
	v_fma_f64 v[76:77], v[78:79], s[0:1], v[84:85]
	v_fma_f64 v[80:81], v[78:79], s[2:3], v[84:85]
	v_fma_f64 v[78:79], v[82:83], s[2:3], v[86:87]
	v_fma_f64 v[82:83], v[82:83], s[0:1], v[86:87]
	ds_store_b128 v138, v[0:3]
	ds_store_b128 v138, v[12:15] offset:1456
	ds_store_b128 v138, v[24:27] offset:2912
	;; [unrolled: 1-line block ×20, first 2 shown]
	s_waitcnt lgkmcnt(0)
	s_barrier
	buffer_gl0_inv
	s_clause 0x3
	scratch_load_b128 v[6:9], off, off offset:140
	scratch_load_b128 v[10:13], off, off offset:156
	scratch_load_b128 v[14:17], off, off offset:284
	scratch_load_b128 v[18:21], off, off offset:268
	ds_load_b128 v[0:3], v138
	s_clause 0x8
	scratch_load_b128 v[22:25], off, off offset:236
	scratch_load_b128 v[30:33], off, off offset:252
	;; [unrolled: 1-line block ×9, first 2 shown]
	s_mov_b32 s2, 0xa36ec936
	s_mov_b32 s3, 0x3f4125a4
	s_mul_i32 s1, s5, 0x93
	s_waitcnt vmcnt(12) lgkmcnt(0)
	v_mul_f64 v[4:5], v[8:9], v[2:3]
	s_delay_alu instid0(VALU_DEP_1) | instskip(SKIP_1) | instid1(VALU_DEP_1)
	v_fma_f64 v[4:5], v[6:7], v[0:1], v[4:5]
	v_mul_f64 v[0:1], v[8:9], v[0:1]
	v_fma_f64 v[6:7], v[6:7], v[2:3], -v[0:1]
	ds_load_b128 v[0:3], v138 offset:2352
	s_waitcnt vmcnt(11) lgkmcnt(0)
	v_mul_f64 v[8:9], v[12:13], v[2:3]
	s_delay_alu instid0(VALU_DEP_1) | instskip(SKIP_1) | instid1(VALU_DEP_1)
	v_fma_f64 v[8:9], v[10:11], v[0:1], v[8:9]
	v_mul_f64 v[0:1], v[12:13], v[0:1]
	v_fma_f64 v[10:11], v[10:11], v[2:3], -v[0:1]
	ds_load_b128 v[0:3], v138 offset:4704
	;; [unrolled: 7-line block ×6, first 2 shown]
	s_waitcnt lgkmcnt(0)
	v_mul_f64 v[28:29], v[32:33], v[2:3]
	s_delay_alu instid0(VALU_DEP_1) | instskip(SKIP_1) | instid1(VALU_DEP_1)
	v_fma_f64 v[28:29], v[30:31], v[0:1], v[28:29]
	v_mul_f64 v[0:1], v[32:33], v[0:1]
	v_fma_f64 v[30:31], v[30:31], v[2:3], -v[0:1]
	ds_load_b128 v[0:3], v138 offset:16464
	s_waitcnt vmcnt(5) lgkmcnt(0)
	v_mul_f64 v[32:33], v[36:37], v[2:3]
	s_delay_alu instid0(VALU_DEP_1) | instskip(SKIP_1) | instid1(VALU_DEP_1)
	v_fma_f64 v[32:33], v[34:35], v[0:1], v[32:33]
	v_mul_f64 v[0:1], v[36:37], v[0:1]
	v_fma_f64 v[34:35], v[34:35], v[2:3], -v[0:1]
	ds_load_b128 v[0:3], v138 offset:18816
	s_waitcnt vmcnt(4) lgkmcnt(0)
	;; [unrolled: 7-line block ×6, first 2 shown]
	v_mul_f64 v[52:53], v[56:57], v[2:3]
	s_delay_alu instid0(VALU_DEP_1) | instskip(SKIP_1) | instid1(VALU_DEP_1)
	v_fma_f64 v[52:53], v[54:55], v[0:1], v[52:53]
	v_mul_f64 v[0:1], v[56:57], v[0:1]
	v_fma_f64 v[54:55], v[54:55], v[2:3], -v[0:1]
	scratch_load_b64 v[0:1], off, off offset:132 ; 8-byte Folded Reload
	v_mul_f64 v[2:3], v[6:7], s[2:3]
	scratch_load_b32 v7, off, off           ; 4-byte Folded Reload
	s_waitcnt vmcnt(1)
	v_mov_b32_e32 v1, v0
	s_delay_alu instid0(VALU_DEP_1) | instskip(SKIP_1) | instid1(VALU_DEP_1)
	v_mad_u64_u32 v[56:57], null, s6, v1, 0
	s_mul_i32 s6, s4, 0x93
	v_mov_b32_e32 v0, v57
	s_delay_alu instid0(VALU_DEP_1) | instskip(SKIP_4) | instid1(SALU_CYCLE_1)
	v_mad_u64_u32 v[57:58], null, s7, v1, v[0:1]
	s_waitcnt vmcnt(0)
	v_mad_u64_u32 v[58:59], null, s4, v7, 0
	v_mul_f64 v[0:1], v[4:5], s[2:3]
	s_mul_hi_u32 s7, s4, 0x93
	s_add_i32 s7, s7, s1
	s_delay_alu instid0(VALU_DEP_3) | instskip(SKIP_1) | instid1(VALU_DEP_3)
	v_lshlrev_b64 v[56:57], 4, v[56:57]
	s_lshl_b64 s[6:7], s[6:7], 4
	v_mov_b32_e32 v4, v59
	s_delay_alu instid0(VALU_DEP_1) | instskip(SKIP_1) | instid1(VALU_DEP_4)
	v_mad_u64_u32 v[5:6], null, s5, v7, v[4:5]
	v_mul_f64 v[6:7], v[10:11], s[2:3]
	v_add_co_u32 v10, s0, s10, v56
	s_delay_alu instid0(VALU_DEP_1) | instskip(NEXT) | instid1(VALU_DEP_4)
	v_add_co_ci_u32_e64 v11, s0, s11, v57, s0
	v_mov_b32_e32 v59, v5
	v_mul_f64 v[4:5], v[8:9], s[2:3]
	s_delay_alu instid0(VALU_DEP_2) | instskip(NEXT) | instid1(VALU_DEP_1)
	v_lshlrev_b64 v[8:9], 4, v[58:59]
	v_add_co_u32 v56, s0, v10, v8
	s_delay_alu instid0(VALU_DEP_1) | instskip(SKIP_2) | instid1(VALU_DEP_4)
	v_add_co_ci_u32_e64 v57, s0, v11, v9, s0
	v_mul_f64 v[8:9], v[12:13], s[2:3]
	v_mul_f64 v[10:11], v[14:15], s[2:3]
	v_add_co_u32 v58, s0, v56, s6
	s_delay_alu instid0(VALU_DEP_1)
	v_add_co_ci_u32_e64 v59, s0, s7, v57, s0
	v_mul_f64 v[12:13], v[16:17], s[2:3]
	v_mul_f64 v[14:15], v[18:19], s[2:3]
	global_store_b128 v[56:57], v[0:3], off
	v_mul_f64 v[0:1], v[20:21], s[2:3]
	v_mul_f64 v[2:3], v[22:23], s[2:3]
	v_add_co_u32 v60, s0, v58, s6
	s_delay_alu instid0(VALU_DEP_1) | instskip(SKIP_1) | instid1(VALU_DEP_3)
	v_add_co_ci_u32_e64 v61, s0, s7, v59, s0
	v_mul_f64 v[16:17], v[24:25], s[2:3]
	v_add_co_u32 v62, s0, v60, s6
	s_delay_alu instid0(VALU_DEP_1) | instskip(SKIP_1) | instid1(VALU_DEP_3)
	v_add_co_ci_u32_e64 v63, s0, s7, v61, s0
	v_mul_f64 v[18:19], v[26:27], s[2:3]
	v_add_co_u32 v56, s0, v62, s6
	s_delay_alu instid0(VALU_DEP_1) | instskip(SKIP_4) | instid1(VALU_DEP_1)
	v_add_co_ci_u32_e64 v57, s0, s7, v63, s0
	global_store_b128 v[58:59], v[4:7], off
	v_mul_f64 v[4:5], v[28:29], s[2:3]
	v_mul_f64 v[6:7], v[30:31], s[2:3]
	v_add_co_u32 v58, s0, v56, s6
	v_add_co_ci_u32_e64 v59, s0, s7, v57, s0
	v_mul_f64 v[20:21], v[32:33], s[2:3]
	v_mul_f64 v[22:23], v[34:35], s[2:3]
	;; [unrolled: 1-line block ×7, first 2 shown]
	v_add_co_u32 v44, s0, v58, s6
	v_mul_f64 v[34:35], v[46:47], s[2:3]
	v_mul_f64 v[36:37], v[48:49], s[2:3]
	;; [unrolled: 1-line block ×3, first 2 shown]
	v_add_co_ci_u32_e64 v45, s0, s7, v59, s0
	v_mul_f64 v[40:41], v[52:53], s[2:3]
	v_mul_f64 v[42:43], v[54:55], s[2:3]
	global_store_b128 v[60:61], v[8:11], off
	v_add_co_u32 v8, s0, v44, s6
	s_delay_alu instid0(VALU_DEP_1) | instskip(SKIP_2) | instid1(VALU_DEP_1)
	v_add_co_ci_u32_e64 v9, s0, s7, v45, s0
	global_store_b128 v[62:63], v[12:15], off
	v_add_co_u32 v10, s0, v8, s6
	v_add_co_ci_u32_e64 v11, s0, s7, v9, s0
	global_store_b128 v[56:57], v[0:3], off
	v_add_co_u32 v2, s0, v10, s6
	s_delay_alu instid0(VALU_DEP_1) | instskip(SKIP_2) | instid1(VALU_DEP_1)
	v_add_co_ci_u32_e64 v3, s0, s7, v11, s0
	global_store_b128 v[58:59], v[16:19], off
	v_add_co_u32 v12, s0, v2, s6
	v_add_co_ci_u32_e64 v13, s0, s7, v3, s0
	;; [unrolled: 7-line block ×3, first 2 shown]
	global_store_b128 v[10:11], v[24:27], off
	global_store_b128 v[2:3], v[28:31], off
	;; [unrolled: 1-line block ×5, first 2 shown]
	s_and_b32 exec_lo, exec_lo, vcc_lo
	s_cbranch_execz .LBB0_15
; %bb.14:
	global_load_b128 v[2:5], v[104:105], off offset:1456
	ds_load_b128 v[6:9], v138 offset:1456
	ds_load_b128 v[10:13], v138 offset:3808
	s_mul_i32 s0, s5, 0xffff9770
	s_delay_alu instid0(SALU_CYCLE_1) | instskip(SKIP_3) | instid1(VALU_DEP_2)
	s_sub_i32 s0, s0, s4
	s_waitcnt vmcnt(0) lgkmcnt(1)
	v_mul_f64 v[14:15], v[8:9], v[4:5]
	v_mul_f64 v[4:5], v[6:7], v[4:5]
	v_fma_f64 v[6:7], v[6:7], v[2:3], v[14:15]
	s_delay_alu instid0(VALU_DEP_2) | instskip(NEXT) | instid1(VALU_DEP_2)
	v_fma_f64 v[4:5], v[2:3], v[8:9], -v[4:5]
	v_mul_f64 v[2:3], v[6:7], s[2:3]
	s_delay_alu instid0(VALU_DEP_2) | instskip(SKIP_1) | instid1(VALU_DEP_1)
	v_mul_f64 v[4:5], v[4:5], s[2:3]
	v_mad_u64_u32 v[6:7], null, 0xffff9770, s4, v[0:1]
	v_add_nc_u32_e32 v7, s0, v7
	global_store_b128 v[6:7], v[2:5], off
	global_load_b128 v[0:3], v[104:105], off offset:3808
	s_waitcnt vmcnt(0) lgkmcnt(0)
	v_mul_f64 v[4:5], v[12:13], v[2:3]
	v_mul_f64 v[2:3], v[10:11], v[2:3]
	s_delay_alu instid0(VALU_DEP_2) | instskip(NEXT) | instid1(VALU_DEP_2)
	v_fma_f64 v[4:5], v[10:11], v[0:1], v[4:5]
	v_fma_f64 v[2:3], v[0:1], v[12:13], -v[2:3]
	v_add_co_u32 v12, vcc_lo, v6, s6
	v_add_co_ci_u32_e32 v13, vcc_lo, s7, v7, vcc_lo
	s_delay_alu instid0(VALU_DEP_4) | instskip(NEXT) | instid1(VALU_DEP_4)
	v_mul_f64 v[0:1], v[4:5], s[2:3]
	v_mul_f64 v[2:3], v[2:3], s[2:3]
	global_store_b128 v[12:13], v[0:3], off
	scratch_load_b64 v[0:1], off, off offset:124 ; 8-byte Folded Reload
	s_waitcnt vmcnt(0)
	global_load_b128 v[0:3], v[0:1], off offset:2064
	ds_load_b128 v[4:7], v138 offset:6160
	ds_load_b128 v[8:11], v138 offset:8512
	s_waitcnt vmcnt(0) lgkmcnt(1)
	v_mul_f64 v[14:15], v[6:7], v[2:3]
	v_mul_f64 v[2:3], v[4:5], v[2:3]
	s_delay_alu instid0(VALU_DEP_2) | instskip(SKIP_4) | instid1(VALU_DEP_3)
	v_fma_f64 v[4:5], v[4:5], v[0:1], v[14:15]
	scratch_load_b64 v[14:15], off, off offset:116 ; 8-byte Folded Reload
	v_fma_f64 v[2:3], v[0:1], v[6:7], -v[2:3]
	v_mul_f64 v[0:1], v[4:5], s[2:3]
	v_add_co_u32 v4, vcc_lo, v12, s6
	v_mul_f64 v[2:3], v[2:3], s[2:3]
	v_add_co_ci_u32_e32 v5, vcc_lo, s7, v13, vcc_lo
	s_delay_alu instid0(VALU_DEP_3) | instskip(NEXT) | instid1(VALU_DEP_2)
	v_add_co_u32 v12, vcc_lo, v4, s6
	v_add_co_ci_u32_e32 v13, vcc_lo, s7, v5, vcc_lo
	global_store_b128 v[4:5], v[0:3], off
	s_waitcnt vmcnt(0)
	global_load_b128 v[0:3], v[14:15], off offset:320
	s_waitcnt vmcnt(0) lgkmcnt(0)
	v_mul_f64 v[6:7], v[10:11], v[2:3]
	v_mul_f64 v[2:3], v[8:9], v[2:3]
	s_delay_alu instid0(VALU_DEP_2) | instskip(NEXT) | instid1(VALU_DEP_2)
	v_fma_f64 v[6:7], v[8:9], v[0:1], v[6:7]
	v_fma_f64 v[2:3], v[0:1], v[10:11], -v[2:3]
	s_delay_alu instid0(VALU_DEP_2) | instskip(NEXT) | instid1(VALU_DEP_2)
	v_mul_f64 v[0:1], v[6:7], s[2:3]
	v_mul_f64 v[2:3], v[2:3], s[2:3]
	global_store_b128 v[12:13], v[0:3], off
	global_load_b128 v[0:3], v[14:15], off offset:2672
	ds_load_b128 v[4:7], v138 offset:10864
	ds_load_b128 v[8:11], v138 offset:13216
	s_waitcnt vmcnt(0) lgkmcnt(1)
	v_mul_f64 v[14:15], v[6:7], v[2:3]
	v_mul_f64 v[2:3], v[4:5], v[2:3]
	s_delay_alu instid0(VALU_DEP_2) | instskip(SKIP_4) | instid1(VALU_DEP_3)
	v_fma_f64 v[4:5], v[4:5], v[0:1], v[14:15]
	scratch_load_b64 v[14:15], off, off offset:108 ; 8-byte Folded Reload
	v_fma_f64 v[2:3], v[0:1], v[6:7], -v[2:3]
	v_mul_f64 v[0:1], v[4:5], s[2:3]
	v_add_co_u32 v4, vcc_lo, v12, s6
	v_mul_f64 v[2:3], v[2:3], s[2:3]
	v_add_co_ci_u32_e32 v5, vcc_lo, s7, v13, vcc_lo
	s_delay_alu instid0(VALU_DEP_3) | instskip(NEXT) | instid1(VALU_DEP_2)
	v_add_co_u32 v12, vcc_lo, v4, s6
	v_add_co_ci_u32_e32 v13, vcc_lo, s7, v5, vcc_lo
	global_store_b128 v[4:5], v[0:3], off
	s_waitcnt vmcnt(0)
	global_load_b128 v[0:3], v[14:15], off offset:928
	s_waitcnt vmcnt(0) lgkmcnt(0)
	v_mul_f64 v[6:7], v[10:11], v[2:3]
	v_mul_f64 v[2:3], v[8:9], v[2:3]
	s_delay_alu instid0(VALU_DEP_2) | instskip(NEXT) | instid1(VALU_DEP_2)
	v_fma_f64 v[6:7], v[8:9], v[0:1], v[6:7]
	v_fma_f64 v[2:3], v[0:1], v[10:11], -v[2:3]
	s_delay_alu instid0(VALU_DEP_2) | instskip(NEXT) | instid1(VALU_DEP_2)
	v_mul_f64 v[0:1], v[6:7], s[2:3]
	v_mul_f64 v[2:3], v[2:3], s[2:3]
	global_store_b128 v[12:13], v[0:3], off
	;; [unrolled: 30-line block ×3, first 2 shown]
	global_load_b128 v[0:3], v[14:15], off offset:3888
	ds_load_b128 v[4:7], v138 offset:20272
	ds_load_b128 v[8:11], v138 offset:22624
	scratch_load_b64 v[16:17], off, off offset:92 ; 8-byte Folded Reload
	s_waitcnt vmcnt(1) lgkmcnt(1)
	v_mul_f64 v[14:15], v[6:7], v[2:3]
	v_mul_f64 v[2:3], v[4:5], v[2:3]
	s_delay_alu instid0(VALU_DEP_2) | instskip(NEXT) | instid1(VALU_DEP_2)
	v_fma_f64 v[4:5], v[4:5], v[0:1], v[14:15]
	v_fma_f64 v[2:3], v[0:1], v[6:7], -v[2:3]
	s_delay_alu instid0(VALU_DEP_2) | instskip(NEXT) | instid1(VALU_DEP_2)
	v_mul_f64 v[0:1], v[4:5], s[2:3]
	v_mul_f64 v[2:3], v[2:3], s[2:3]
	v_add_co_u32 v4, vcc_lo, v12, s6
	v_add_co_ci_u32_e32 v5, vcc_lo, s7, v13, vcc_lo
	s_delay_alu instid0(VALU_DEP_2) | instskip(NEXT) | instid1(VALU_DEP_2)
	v_add_co_u32 v12, vcc_lo, v4, s6
	v_add_co_ci_u32_e32 v13, vcc_lo, s7, v5, vcc_lo
	global_store_b128 v[4:5], v[0:3], off
	scratch_load_b64 v[0:1], off, off offset:100 ; 8-byte Folded Reload
	s_waitcnt vmcnt(0)
	global_load_b128 v[0:3], v[0:1], off offset:2144
	s_waitcnt vmcnt(0) lgkmcnt(0)
	v_mul_f64 v[6:7], v[10:11], v[2:3]
	v_mul_f64 v[2:3], v[8:9], v[2:3]
	s_delay_alu instid0(VALU_DEP_2) | instskip(NEXT) | instid1(VALU_DEP_2)
	v_fma_f64 v[6:7], v[8:9], v[0:1], v[6:7]
	v_fma_f64 v[2:3], v[0:1], v[10:11], -v[2:3]
	s_delay_alu instid0(VALU_DEP_2) | instskip(NEXT) | instid1(VALU_DEP_2)
	v_mul_f64 v[0:1], v[6:7], s[2:3]
	v_mul_f64 v[2:3], v[2:3], s[2:3]
	global_store_b128 v[12:13], v[0:3], off
	global_load_b128 v[0:3], v[16:17], off offset:400
	ds_load_b128 v[4:7], v138 offset:24976
	ds_load_b128 v[8:11], v138 offset:27328
	s_waitcnt vmcnt(0) lgkmcnt(1)
	v_mul_f64 v[14:15], v[6:7], v[2:3]
	v_mul_f64 v[2:3], v[4:5], v[2:3]
	s_delay_alu instid0(VALU_DEP_2) | instskip(NEXT) | instid1(VALU_DEP_2)
	v_fma_f64 v[4:5], v[4:5], v[0:1], v[14:15]
	v_fma_f64 v[2:3], v[0:1], v[6:7], -v[2:3]
	s_delay_alu instid0(VALU_DEP_2) | instskip(NEXT) | instid1(VALU_DEP_2)
	v_mul_f64 v[0:1], v[4:5], s[2:3]
	v_mul_f64 v[2:3], v[2:3], s[2:3]
	v_add_co_u32 v4, vcc_lo, v12, s6
	v_add_co_ci_u32_e32 v5, vcc_lo, s7, v13, vcc_lo
	global_store_b128 v[4:5], v[0:3], off
	global_load_b128 v[0:3], v[16:17], off offset:2752
	s_waitcnt vmcnt(0) lgkmcnt(0)
	v_mul_f64 v[6:7], v[10:11], v[2:3]
	v_mul_f64 v[2:3], v[8:9], v[2:3]
	s_delay_alu instid0(VALU_DEP_2) | instskip(NEXT) | instid1(VALU_DEP_2)
	v_fma_f64 v[6:7], v[8:9], v[0:1], v[6:7]
	v_fma_f64 v[2:3], v[0:1], v[10:11], -v[2:3]
	v_add_co_u32 v8, vcc_lo, v4, s6
	v_add_co_ci_u32_e32 v9, vcc_lo, s7, v5, vcc_lo
	s_delay_alu instid0(VALU_DEP_4) | instskip(NEXT) | instid1(VALU_DEP_4)
	v_mul_f64 v[0:1], v[6:7], s[2:3]
	v_mul_f64 v[2:3], v[2:3], s[2:3]
	ds_load_b128 v[4:7], v138 offset:29680
	global_store_b128 v[8:9], v[0:3], off
	global_load_b128 v[0:3], v[206:207], off offset:1008
	s_waitcnt vmcnt(0) lgkmcnt(0)
	v_mul_f64 v[10:11], v[6:7], v[2:3]
	v_mul_f64 v[2:3], v[4:5], v[2:3]
	s_delay_alu instid0(VALU_DEP_2) | instskip(NEXT) | instid1(VALU_DEP_2)
	v_fma_f64 v[4:5], v[4:5], v[0:1], v[10:11]
	v_fma_f64 v[2:3], v[0:1], v[6:7], -v[2:3]
	s_delay_alu instid0(VALU_DEP_2) | instskip(NEXT) | instid1(VALU_DEP_2)
	v_mul_f64 v[0:1], v[4:5], s[2:3]
	v_mul_f64 v[2:3], v[2:3], s[2:3]
	v_add_co_u32 v4, vcc_lo, v8, s6
	v_add_co_ci_u32_e32 v5, vcc_lo, s7, v9, vcc_lo
	global_store_b128 v[4:5], v[0:3], off
.LBB0_15:
	s_nop 0
	s_sendmsg sendmsg(MSG_DEALLOC_VGPRS)
	s_endpgm
	.section	.rodata,"a",@progbits
	.p2align	6, 0x0
	.amdhsa_kernel bluestein_single_fwd_len1911_dim1_dp_op_CI_CI
		.amdhsa_group_segment_fixed_size 30576
		.amdhsa_private_segment_fixed_size 820
		.amdhsa_kernarg_size 104
		.amdhsa_user_sgpr_count 15
		.amdhsa_user_sgpr_dispatch_ptr 0
		.amdhsa_user_sgpr_queue_ptr 0
		.amdhsa_user_sgpr_kernarg_segment_ptr 1
		.amdhsa_user_sgpr_dispatch_id 0
		.amdhsa_user_sgpr_private_segment_size 0
		.amdhsa_wavefront_size32 1
		.amdhsa_uses_dynamic_stack 0
		.amdhsa_enable_private_segment 1
		.amdhsa_system_sgpr_workgroup_id_x 1
		.amdhsa_system_sgpr_workgroup_id_y 0
		.amdhsa_system_sgpr_workgroup_id_z 0
		.amdhsa_system_sgpr_workgroup_info 0
		.amdhsa_system_vgpr_workitem_id 0
		.amdhsa_next_free_vgpr 256
		.amdhsa_next_free_sgpr 46
		.amdhsa_reserve_vcc 1
		.amdhsa_float_round_mode_32 0
		.amdhsa_float_round_mode_16_64 0
		.amdhsa_float_denorm_mode_32 3
		.amdhsa_float_denorm_mode_16_64 3
		.amdhsa_dx10_clamp 1
		.amdhsa_ieee_mode 1
		.amdhsa_fp16_overflow 0
		.amdhsa_workgroup_processor_mode 1
		.amdhsa_memory_ordered 1
		.amdhsa_forward_progress 0
		.amdhsa_shared_vgpr_count 0
		.amdhsa_exception_fp_ieee_invalid_op 0
		.amdhsa_exception_fp_denorm_src 0
		.amdhsa_exception_fp_ieee_div_zero 0
		.amdhsa_exception_fp_ieee_overflow 0
		.amdhsa_exception_fp_ieee_underflow 0
		.amdhsa_exception_fp_ieee_inexact 0
		.amdhsa_exception_int_div_zero 0
	.end_amdhsa_kernel
	.text
.Lfunc_end0:
	.size	bluestein_single_fwd_len1911_dim1_dp_op_CI_CI, .Lfunc_end0-bluestein_single_fwd_len1911_dim1_dp_op_CI_CI
                                        ; -- End function
	.section	.AMDGPU.csdata,"",@progbits
; Kernel info:
; codeLenInByte = 42388
; NumSgprs: 48
; NumVgprs: 256
; ScratchSize: 820
; MemoryBound: 0
; FloatMode: 240
; IeeeMode: 1
; LDSByteSize: 30576 bytes/workgroup (compile time only)
; SGPRBlocks: 5
; VGPRBlocks: 31
; NumSGPRsForWavesPerEU: 48
; NumVGPRsForWavesPerEU: 256
; Occupancy: 3
; WaveLimiterHint : 1
; COMPUTE_PGM_RSRC2:SCRATCH_EN: 1
; COMPUTE_PGM_RSRC2:USER_SGPR: 15
; COMPUTE_PGM_RSRC2:TRAP_HANDLER: 0
; COMPUTE_PGM_RSRC2:TGID_X_EN: 1
; COMPUTE_PGM_RSRC2:TGID_Y_EN: 0
; COMPUTE_PGM_RSRC2:TGID_Z_EN: 0
; COMPUTE_PGM_RSRC2:TIDIG_COMP_CNT: 0
	.text
	.p2alignl 7, 3214868480
	.fill 96, 4, 3214868480
	.type	__hip_cuid_5d413e97e403e486,@object ; @__hip_cuid_5d413e97e403e486
	.section	.bss,"aw",@nobits
	.globl	__hip_cuid_5d413e97e403e486
__hip_cuid_5d413e97e403e486:
	.byte	0                               ; 0x0
	.size	__hip_cuid_5d413e97e403e486, 1

	.ident	"AMD clang version 19.0.0git (https://github.com/RadeonOpenCompute/llvm-project roc-6.4.0 25133 c7fe45cf4b819c5991fe208aaa96edf142730f1d)"
	.section	".note.GNU-stack","",@progbits
	.addrsig
	.addrsig_sym __hip_cuid_5d413e97e403e486
	.amdgpu_metadata
---
amdhsa.kernels:
  - .args:
      - .actual_access:  read_only
        .address_space:  global
        .offset:         0
        .size:           8
        .value_kind:     global_buffer
      - .actual_access:  read_only
        .address_space:  global
        .offset:         8
        .size:           8
        .value_kind:     global_buffer
      - .actual_access:  read_only
        .address_space:  global
        .offset:         16
        .size:           8
        .value_kind:     global_buffer
      - .actual_access:  read_only
        .address_space:  global
        .offset:         24
        .size:           8
        .value_kind:     global_buffer
      - .actual_access:  read_only
        .address_space:  global
        .offset:         32
        .size:           8
        .value_kind:     global_buffer
      - .offset:         40
        .size:           8
        .value_kind:     by_value
      - .address_space:  global
        .offset:         48
        .size:           8
        .value_kind:     global_buffer
      - .address_space:  global
        .offset:         56
        .size:           8
        .value_kind:     global_buffer
      - .address_space:  global
        .offset:         64
        .size:           8
        .value_kind:     global_buffer
      - .address_space:  global
        .offset:         72
        .size:           8
        .value_kind:     global_buffer
      - .offset:         80
        .size:           4
        .value_kind:     by_value
      - .address_space:  global
        .offset:         88
        .size:           8
        .value_kind:     global_buffer
      - .address_space:  global
        .offset:         96
        .size:           8
        .value_kind:     global_buffer
    .group_segment_fixed_size: 30576
    .kernarg_segment_align: 8
    .kernarg_segment_size: 104
    .language:       OpenCL C
    .language_version:
      - 2
      - 0
    .max_flat_workgroup_size: 91
    .name:           bluestein_single_fwd_len1911_dim1_dp_op_CI_CI
    .private_segment_fixed_size: 820
    .sgpr_count:     48
    .sgpr_spill_count: 0
    .symbol:         bluestein_single_fwd_len1911_dim1_dp_op_CI_CI.kd
    .uniform_work_group_size: 1
    .uses_dynamic_stack: false
    .vgpr_count:     256
    .vgpr_spill_count: 252
    .wavefront_size: 32
    .workgroup_processor_mode: 1
amdhsa.target:   amdgcn-amd-amdhsa--gfx1100
amdhsa.version:
  - 1
  - 2
...

	.end_amdgpu_metadata
